;; amdgpu-corpus repo=ROCm/rocFFT kind=compiled arch=gfx950 opt=O3
	.text
	.amdgcn_target "amdgcn-amd-amdhsa--gfx950"
	.amdhsa_code_object_version 6
	.protected	fft_rtc_back_len325_factors_13_5_5_wgs_52_tpt_13_dp_op_CI_CI_sbrr_dirReg ; -- Begin function fft_rtc_back_len325_factors_13_5_5_wgs_52_tpt_13_dp_op_CI_CI_sbrr_dirReg
	.globl	fft_rtc_back_len325_factors_13_5_5_wgs_52_tpt_13_dp_op_CI_CI_sbrr_dirReg
	.p2align	8
	.type	fft_rtc_back_len325_factors_13_5_5_wgs_52_tpt_13_dp_op_CI_CI_sbrr_dirReg,@function
fft_rtc_back_len325_factors_13_5_5_wgs_52_tpt_13_dp_op_CI_CI_sbrr_dirReg: ; @fft_rtc_back_len325_factors_13_5_5_wgs_52_tpt_13_dp_op_CI_CI_sbrr_dirReg
; %bb.0:
	s_load_dwordx4 s[12:15], s[0:1], 0x18
	s_load_dwordx4 s[8:11], s[0:1], 0x0
	;; [unrolled: 1-line block ×3, first 2 shown]
	v_mul_u32_u24_e32 v1, 0x13b2, v0
	v_lshrrev_b32_e32 v1, 16, v1
	s_waitcnt lgkmcnt(0)
	s_load_dwordx2 s[18:19], s[12:13], 0x0
	s_load_dwordx2 s[16:17], s[14:15], 0x0
	v_lshl_add_u32 v6, s2, 2, v1
	v_mov_b32_e32 v4, 0
	v_cmp_lt_u64_e64 s[2:3], s[10:11], 2
	v_mov_b32_e32 v7, v4
	s_and_b64 vcc, exec, s[2:3]
	v_mov_b64_e32 v[2:3], 0
	s_cbranch_vccnz .LBB0_8
; %bb.1:
	s_load_dwordx2 s[2:3], s[0:1], 0x10
	s_add_u32 s20, s14, 8
	s_addc_u32 s21, s15, 0
	s_add_u32 s22, s12, 8
	s_addc_u32 s23, s13, 0
	s_waitcnt lgkmcnt(0)
	s_add_u32 s24, s2, 8
	v_mov_b64_e32 v[2:3], 0
	s_addc_u32 s25, s3, 0
	s_mov_b64 s[26:27], 1
	v_mov_b64_e32 v[100:101], v[2:3]
.LBB0_2:                                ; =>This Inner Loop Header: Depth=1
	s_load_dwordx2 s[28:29], s[24:25], 0x0
                                        ; implicit-def: $vgpr102_vgpr103
	s_waitcnt lgkmcnt(0)
	v_or_b32_e32 v5, s29, v7
	v_cmp_ne_u64_e32 vcc, 0, v[4:5]
	s_and_saveexec_b64 s[2:3], vcc
	s_xor_b64 s[30:31], exec, s[2:3]
	s_cbranch_execz .LBB0_4
; %bb.3:                                ;   in Loop: Header=BB0_2 Depth=1
	v_cvt_f32_u32_e32 v5, s28
	v_cvt_f32_u32_e32 v8, s29
	s_sub_u32 s2, 0, s28
	s_subb_u32 s3, 0, s29
	v_fmac_f32_e32 v5, 0x4f800000, v8
	v_rcp_f32_e32 v5, v5
	s_nop 0
	v_mul_f32_e32 v5, 0x5f7ffffc, v5
	v_mul_f32_e32 v8, 0x2f800000, v5
	v_trunc_f32_e32 v8, v8
	v_fmac_f32_e32 v5, 0xcf800000, v8
	v_cvt_u32_f32_e32 v12, v8
	v_cvt_u32_f32_e32 v5, v5
	v_mul_lo_u32 v8, s2, v12
	v_mul_hi_u32 v10, s2, v5
	v_mul_lo_u32 v9, s3, v5
	v_add_u32_e32 v10, v10, v8
	v_mul_lo_u32 v13, s2, v5
	v_add_u32_e32 v14, v10, v9
	v_mul_hi_u32 v8, v5, v13
	v_mul_hi_u32 v11, v5, v14
	v_mul_lo_u32 v10, v5, v14
	v_mov_b32_e32 v9, v4
	v_lshl_add_u64 v[8:9], v[8:9], 0, v[10:11]
	v_mul_hi_u32 v11, v12, v13
	v_mul_lo_u32 v13, v12, v13
	v_add_co_u32_e32 v8, vcc, v8, v13
	v_mul_hi_u32 v10, v12, v14
	s_nop 0
	v_addc_co_u32_e32 v8, vcc, v9, v11, vcc
	v_mov_b32_e32 v9, v4
	s_nop 0
	v_addc_co_u32_e32 v11, vcc, 0, v10, vcc
	v_mul_lo_u32 v10, v12, v14
	v_lshl_add_u64 v[8:9], v[8:9], 0, v[10:11]
	v_add_co_u32_e32 v5, vcc, v5, v8
	v_mul_lo_u32 v10, s2, v5
	s_nop 0
	v_addc_co_u32_e32 v12, vcc, v12, v9, vcc
	v_mul_lo_u32 v8, s2, v12
	v_mul_hi_u32 v9, s2, v5
	v_add_u32_e32 v8, v9, v8
	v_mul_lo_u32 v9, s3, v5
	v_add_u32_e32 v13, v8, v9
	v_mul_hi_u32 v15, v12, v10
	v_mul_lo_u32 v16, v12, v10
	v_mul_hi_u32 v9, v5, v13
	v_mul_lo_u32 v8, v5, v13
	v_mul_hi_u32 v10, v5, v10
	v_mov_b32_e32 v11, v4
	v_lshl_add_u64 v[8:9], v[10:11], 0, v[8:9]
	v_add_co_u32_e32 v8, vcc, v8, v16
	v_mul_hi_u32 v14, v12, v13
	s_nop 0
	v_addc_co_u32_e32 v8, vcc, v9, v15, vcc
	v_mul_lo_u32 v10, v12, v13
	s_nop 0
	v_addc_co_u32_e32 v11, vcc, 0, v14, vcc
	v_mov_b32_e32 v9, v4
	v_lshl_add_u64 v[8:9], v[8:9], 0, v[10:11]
	v_add_co_u32_e32 v5, vcc, v5, v8
	v_mul_hi_u32 v10, v6, v5
	s_nop 0
	v_addc_co_u32_e32 v12, vcc, v12, v9, vcc
	v_mad_u64_u32 v[8:9], s[2:3], v6, v12, 0
	v_mov_b32_e32 v11, v4
	v_lshl_add_u64 v[8:9], v[10:11], 0, v[8:9]
	v_mad_u64_u32 v[10:11], s[2:3], v7, v12, 0
	v_mad_u64_u32 v[12:13], s[2:3], v7, v5, 0
	v_add_co_u32_e32 v5, vcc, v8, v12
	s_nop 1
	v_addc_co_u32_e32 v8, vcc, v9, v13, vcc
	v_mov_b32_e32 v9, v4
	s_nop 0
	v_addc_co_u32_e32 v11, vcc, 0, v11, vcc
	v_lshl_add_u64 v[8:9], v[8:9], 0, v[10:11]
	v_mul_lo_u32 v5, s29, v8
	v_mul_lo_u32 v12, s28, v9
	v_mad_u64_u32 v[10:11], s[2:3], s28, v8, 0
	v_add3_u32 v5, v11, v12, v5
	v_sub_u32_e32 v11, v7, v5
	v_mov_b32_e32 v12, s29
	v_sub_co_u32_e32 v14, vcc, v6, v10
	s_nop 1
	v_subb_co_u32_e64 v10, s[2:3], v11, v12, vcc
	v_subrev_co_u32_e64 v11, s[2:3], s28, v14
	v_subb_co_u32_e32 v5, vcc, v7, v5, vcc
	s_nop 0
	v_subbrev_co_u32_e64 v10, s[2:3], 0, v10, s[2:3]
	v_cmp_le_u32_e64 s[2:3], s29, v10
	v_cmp_le_u32_e32 vcc, s29, v5
	s_nop 0
	v_cndmask_b32_e64 v12, 0, -1, s[2:3]
	v_cmp_le_u32_e64 s[2:3], s28, v11
	s_nop 1
	v_cndmask_b32_e64 v11, 0, -1, s[2:3]
	v_cmp_eq_u32_e64 s[2:3], s29, v10
	s_nop 1
	v_cndmask_b32_e64 v15, v12, v11, s[2:3]
	v_lshl_add_u64 v[10:11], v[8:9], 0, 2
	v_lshl_add_u64 v[12:13], v[8:9], 0, 1
	v_cmp_ne_u32_e64 s[2:3], 0, v15
	s_nop 1
	v_cndmask_b32_e64 v11, v13, v11, s[2:3]
	v_cndmask_b32_e64 v13, 0, -1, vcc
	v_cmp_le_u32_e32 vcc, s28, v14
	s_nop 1
	v_cndmask_b32_e64 v14, 0, -1, vcc
	v_cmp_eq_u32_e32 vcc, s29, v5
	s_nop 1
	v_cndmask_b32_e32 v5, v13, v14, vcc
	v_cmp_ne_u32_e32 vcc, 0, v5
	v_cndmask_b32_e64 v5, v12, v10, s[2:3]
	s_nop 0
	v_cndmask_b32_e32 v103, v9, v11, vcc
	v_cndmask_b32_e32 v102, v8, v5, vcc
.LBB0_4:                                ;   in Loop: Header=BB0_2 Depth=1
	s_andn2_saveexec_b64 s[2:3], s[30:31]
	s_cbranch_execz .LBB0_6
; %bb.5:                                ;   in Loop: Header=BB0_2 Depth=1
	v_cvt_f32_u32_e32 v5, s28
	s_sub_i32 s30, 0, s28
	v_mov_b32_e32 v103, v4
	v_rcp_iflag_f32_e32 v5, v5
	s_nop 0
	v_mul_f32_e32 v5, 0x4f7ffffe, v5
	v_cvt_u32_f32_e32 v5, v5
	v_mul_lo_u32 v8, s30, v5
	v_mul_hi_u32 v8, v5, v8
	v_add_u32_e32 v5, v5, v8
	v_mul_hi_u32 v5, v6, v5
	v_mul_lo_u32 v8, v5, s28
	v_sub_u32_e32 v8, v6, v8
	v_add_u32_e32 v9, 1, v5
	v_subrev_u32_e32 v10, s28, v8
	v_cmp_le_u32_e32 vcc, s28, v8
	s_nop 1
	v_cndmask_b32_e32 v8, v8, v10, vcc
	v_cndmask_b32_e32 v5, v5, v9, vcc
	v_add_u32_e32 v9, 1, v5
	v_cmp_le_u32_e32 vcc, s28, v8
	s_nop 1
	v_cndmask_b32_e32 v102, v5, v9, vcc
.LBB0_6:                                ;   in Loop: Header=BB0_2 Depth=1
	s_or_b64 exec, exec, s[2:3]
	v_mad_u64_u32 v[8:9], s[2:3], v102, s28, 0
	s_load_dwordx2 s[2:3], s[22:23], 0x0
	v_mul_lo_u32 v5, v103, s28
	v_mul_lo_u32 v10, v102, s29
	s_load_dwordx2 s[28:29], s[20:21], 0x0
	s_add_u32 s26, s26, 1
	v_add3_u32 v5, v9, v10, v5
	v_sub_co_u32_e32 v6, vcc, v6, v8
	s_addc_u32 s27, s27, 0
	s_nop 0
	v_subb_co_u32_e32 v5, vcc, v7, v5, vcc
	s_add_u32 s20, s20, 8
	s_waitcnt lgkmcnt(0)
	v_mul_lo_u32 v7, s2, v5
	v_mul_lo_u32 v8, s3, v6
	v_mad_u64_u32 v[2:3], s[2:3], s2, v6, v[2:3]
	s_addc_u32 s21, s21, 0
	v_add3_u32 v3, v8, v3, v7
	v_mul_lo_u32 v5, s28, v5
	v_mul_lo_u32 v7, s29, v6
	v_mad_u64_u32 v[100:101], s[2:3], s28, v6, v[100:101]
	s_add_u32 s22, s22, 8
	v_add3_u32 v101, v7, v101, v5
	s_addc_u32 s23, s23, 0
	v_mov_b64_e32 v[6:7], s[10:11]
	s_add_u32 s24, s24, 8
	v_cmp_ge_u64_e32 vcc, s[26:27], v[6:7]
	s_addc_u32 s25, s25, 0
	s_cbranch_vccnz .LBB0_9
; %bb.7:                                ;   in Loop: Header=BB0_2 Depth=1
	v_mov_b64_e32 v[6:7], v[102:103]
	s_branch .LBB0_2
.LBB0_8:
	v_mov_b64_e32 v[100:101], v[2:3]
	v_mov_b64_e32 v[102:103], v[6:7]
.LBB0_9:
	s_load_dwordx2 s[0:1], s[0:1], 0x28
	s_lshl_b64 s[10:11], s[10:11], 3
	s_add_u32 s2, s14, s10
	v_and_b32_e32 v1, 3, v1
	s_addc_u32 s3, s15, s11
	s_waitcnt lgkmcnt(0)
	v_cmp_gt_u64_e32 vcc, s[0:1], v[102:103]
	v_cmp_le_u64_e64 s[0:1], s[0:1], v[102:103]
                                        ; implicit-def: $vgpr132
                                        ; implicit-def: $vgpr135
	s_and_saveexec_b64 s[14:15], s[0:1]
	s_xor_b64 s[0:1], exec, s[14:15]
; %bb.10:
	s_mov_b32 s14, 0x13b13b14
	v_mul_hi_u32 v2, v0, s14
	v_mul_u32_u24_e32 v2, 13, v2
	v_sub_u32_e32 v132, v0, v2
	v_add_u32_e32 v135, 13, v132
                                        ; implicit-def: $vgpr0
                                        ; implicit-def: $vgpr2_vgpr3
; %bb.11:
	s_or_saveexec_b64 s[0:1], s[0:1]
	v_mul_u32_u24_e32 v1, 0x145, v1
	v_lshlrev_b32_e32 v137, 4, v1
	s_xor_b64 exec, exec, s[0:1]
	s_cbranch_execz .LBB0_13
; %bb.12:
	s_add_u32 s10, s12, s10
	s_addc_u32 s11, s13, s11
	s_load_dwordx2 s[10:11], s[10:11], 0x0
	s_mov_b32 s12, 0x13b13b14
	s_waitcnt lgkmcnt(0)
	v_mul_lo_u32 v1, s11, v102
	v_mul_lo_u32 v6, s10, v103
	v_mad_u64_u32 v[4:5], s[10:11], s10, v102, 0
	v_add3_u32 v5, v5, v6, v1
	v_mul_hi_u32 v1, v0, s12
	v_mul_u32_u24_e32 v1, 13, v1
	v_sub_u32_e32 v132, v0, v1
	v_mad_u64_u32 v[0:1], s[10:11], s18, v132, 0
	v_mov_b32_e32 v6, v1
	v_mad_u64_u32 v[6:7], s[10:11], s19, v132, v[6:7]
	v_lshl_add_u64 v[4:5], v[4:5], 4, s[4:5]
	v_mov_b32_e32 v1, v6
	v_lshl_add_u64 v[8:9], v[2:3], 4, v[4:5]
	v_add_u32_e32 v135, 13, v132
	v_lshl_add_u64 v[10:11], v[0:1], 4, v[8:9]
	v_mad_u64_u32 v[0:1], s[4:5], s18, v135, 0
	v_mov_b32_e32 v2, v1
	v_mad_u64_u32 v[2:3], s[4:5], s19, v135, v[2:3]
	v_mov_b32_e32 v1, v2
	v_lshl_add_u64 v[12:13], v[0:1], 4, v[8:9]
	global_load_dwordx4 v[0:3], v[10:11], off
	global_load_dwordx4 v[4:7], v[12:13], off
	v_add_u32_e32 v13, 26, v132
	v_mad_u64_u32 v[10:11], s[4:5], s18, v13, 0
	v_mov_b32_e32 v12, v11
	v_mad_u64_u32 v[12:13], s[4:5], s19, v13, v[12:13]
	v_mov_b32_e32 v11, v12
	v_add_u32_e32 v13, 39, v132
	v_lshl_add_u64 v[18:19], v[10:11], 4, v[8:9]
	v_mad_u64_u32 v[10:11], s[4:5], s18, v13, 0
	v_mov_b32_e32 v12, v11
	v_mad_u64_u32 v[12:13], s[4:5], s19, v13, v[12:13]
	v_mov_b32_e32 v11, v12
	v_lshl_add_u64 v[20:21], v[10:11], 4, v[8:9]
	global_load_dwordx4 v[10:13], v[18:19], off
	global_load_dwordx4 v[14:17], v[20:21], off
	v_add_u32_e32 v21, 52, v132
	v_mad_u64_u32 v[18:19], s[4:5], s18, v21, 0
	v_mov_b32_e32 v20, v19
	v_mad_u64_u32 v[20:21], s[4:5], s19, v21, v[20:21]
	v_mov_b32_e32 v19, v20
	;; [unrolled: 14-line block ×7, first 2 shown]
	v_add_u32_e32 v61, 0xc3, v132
	v_lshl_add_u64 v[66:67], v[58:59], 4, v[8:9]
	v_mad_u64_u32 v[58:59], s[4:5], s18, v61, 0
	v_mov_b32_e32 v60, v59
	v_mad_u64_u32 v[60:61], s[4:5], s19, v61, v[60:61]
	v_mov_b32_e32 v59, v60
	v_lshl_add_u64 v[68:69], v[58:59], 4, v[8:9]
	global_load_dwordx4 v[58:61], v[66:67], off
	global_load_dwordx4 v[62:65], v[68:69], off
	v_or_b32_e32 v69, 0xd0, v132
	v_mad_u64_u32 v[66:67], s[4:5], s18, v69, 0
	v_mov_b32_e32 v68, v67
	v_mad_u64_u32 v[68:69], s[4:5], s19, v69, v[68:69]
	v_mov_b32_e32 v67, v68
	v_add_u32_e32 v69, 0xdd, v132
	v_lshl_add_u64 v[74:75], v[66:67], 4, v[8:9]
	v_mad_u64_u32 v[66:67], s[4:5], s18, v69, 0
	v_mov_b32_e32 v68, v67
	v_mad_u64_u32 v[68:69], s[4:5], s19, v69, v[68:69]
	v_mov_b32_e32 v67, v68
	v_lshl_add_u64 v[76:77], v[66:67], 4, v[8:9]
	global_load_dwordx4 v[66:69], v[74:75], off
	global_load_dwordx4 v[70:73], v[76:77], off
	v_add_u32_e32 v77, 0xea, v132
	v_mad_u64_u32 v[74:75], s[4:5], s18, v77, 0
	v_mov_b32_e32 v76, v75
	v_mad_u64_u32 v[76:77], s[4:5], s19, v77, v[76:77]
	v_mov_b32_e32 v75, v76
	v_add_u32_e32 v77, 0xf7, v132
	v_lshl_add_u64 v[82:83], v[74:75], 4, v[8:9]
	v_mad_u64_u32 v[74:75], s[4:5], s18, v77, 0
	v_mov_b32_e32 v76, v75
	v_mad_u64_u32 v[76:77], s[4:5], s19, v77, v[76:77]
	v_mov_b32_e32 v75, v76
	v_lshl_add_u64 v[84:85], v[74:75], 4, v[8:9]
	global_load_dwordx4 v[74:77], v[82:83], off
	global_load_dwordx4 v[78:81], v[84:85], off
	v_add_u32_e32 v85, 0x104, v132
	;; [unrolled: 14-line block ×3, first 2 shown]
	v_mad_u64_u32 v[90:91], s[4:5], s18, v93, 0
	v_mov_b32_e32 v92, v91
	v_mad_u64_u32 v[92:93], s[4:5], s19, v93, v[92:93]
	v_mov_b32_e32 v91, v92
	v_add_u32_e32 v93, 0x12b, v132
	v_lshl_add_u64 v[98:99], v[90:91], 4, v[8:9]
	v_mad_u64_u32 v[90:91], s[4:5], s18, v93, 0
	v_mov_b32_e32 v92, v91
	v_mad_u64_u32 v[92:93], s[4:5], s19, v93, v[92:93]
	v_mov_b32_e32 v91, v92
	v_lshl_add_u64 v[104:105], v[90:91], 4, v[8:9]
	v_add_u32_e32 v91, 0x138, v132
	v_mad_u64_u32 v[106:107], s[4:5], s18, v91, 0
	v_mov_b32_e32 v90, v107
	v_mad_u64_u32 v[108:109], s[4:5], s19, v91, v[90:91]
	global_load_dwordx4 v[90:93], v[98:99], off
	global_load_dwordx4 v[94:97], v[104:105], off
	v_mov_b32_e32 v107, v108
	v_lshl_add_u64 v[8:9], v[106:107], 4, v[8:9]
	global_load_dwordx4 v[104:107], v[8:9], off
	v_lshlrev_b32_e32 v8, 4, v132
	v_add3_u32 v8, 0, v137, v8
	s_waitcnt vmcnt(24)
	ds_write_b128 v8, v[0:3]
	s_waitcnt vmcnt(23)
	ds_write_b128 v8, v[4:7] offset:208
	s_waitcnt vmcnt(22)
	ds_write_b128 v8, v[10:13] offset:416
	;; [unrolled: 2-line block ×24, first 2 shown]
.LBB0_13:
	s_or_b64 exec, exec, s[0:1]
	v_add_u32_e32 v133, 0, v137
	v_lshlrev_b32_e32 v0, 4, v132
	v_add_u32_e32 v136, v133, v0
	v_add_u32_e32 v0, 0, v0
	s_load_dwordx2 s[2:3], s[2:3], 0x0
	s_waitcnt lgkmcnt(0)
	; wave barrier
	s_waitcnt lgkmcnt(0)
	v_add_u32_e32 v134, v0, v137
	ds_read_b128 v[92:95], v136
	ds_read_b128 v[0:3], v134 offset:208
	ds_read_b128 v[104:107], v134 offset:400
	;; [unrolled: 1-line block ×25, first 2 shown]
	s_waitcnt lgkmcnt(14)
	v_add_f64 v[52:53], v[92:93], v[104:105]
	v_add_f64 v[54:55], v[94:95], v[106:107]
	;; [unrolled: 1-line block ×10, first 2 shown]
	s_waitcnt lgkmcnt(13)
	v_add_f64 v[52:53], v[52:53], v[56:57]
	v_add_f64 v[54:55], v[54:55], v[58:59]
	s_waitcnt lgkmcnt(11)
	v_add_f64 v[52:53], v[52:53], v[60:61]
	v_add_f64 v[54:55], v[54:55], v[62:63]
	;; [unrolled: 3-line block ×4, first 2 shown]
	s_waitcnt lgkmcnt(5)
	v_add_f64 v[52:53], v[52:53], v[84:85]
	s_mov_b32 s14, 0x4267c47c
	s_mov_b32 s20, 0x42a4c3d2
	;; [unrolled: 1-line block ×6, first 2 shown]
	v_add_f64 v[54:55], v[54:55], v[86:87]
	s_waitcnt lgkmcnt(3)
	v_add_f64 v[52:53], v[52:53], v[96:97]
	s_waitcnt lgkmcnt(1)
	v_add_f64 v[114:115], v[106:107], v[110:111]
	v_add_f64 v[106:107], v[106:107], -v[110:111]
	s_mov_b32 s15, 0xbfddbe06
	s_mov_b32 s4, 0xe00740e9
	;; [unrolled: 1-line block ×12, first 2 shown]
	v_add_f64 v[54:55], v[54:55], v[98:99]
	v_add_f64 v[52:53], v[52:53], v[108:109]
	;; [unrolled: 1-line block ×3, first 2 shown]
	v_add_f64 v[104:105], v[104:105], -v[108:109]
	v_mul_f64 v[108:109], v[106:107], s[14:15]
	s_mov_b32 s5, 0x3fec55a7
	v_mul_f64 v[120:121], v[106:107], s[20:21]
	s_mov_b32 s11, 0x3fe22d96
	;; [unrolled: 2-line block ×6, first 2 shown]
	v_add_f64 v[54:55], v[54:55], v[110:111]
	v_fma_f64 v[110:111], s[4:5], v[112:113], v[108:109]
	v_fma_f64 v[108:109], v[112:113], s[4:5], -v[108:109]
	v_fma_f64 v[122:123], s[10:11], v[112:113], v[120:121]
	v_fma_f64 v[120:121], v[112:113], s[10:11], -v[120:121]
	;; [unrolled: 2-line block ×6, first 2 shown]
	v_add_f64 v[110:111], v[92:93], v[110:111]
	v_mul_f64 v[116:117], v[114:115], s[4:5]
	s_mov_b32 s35, 0x3fddbe06
	s_mov_b32 s34, s14
	v_add_f64 v[108:109], v[92:93], v[108:109]
	v_add_f64 v[122:123], v[92:93], v[122:123]
	v_mul_f64 v[124:125], v[114:115], s[10:11]
	s_mov_b32 s45, 0x3fea55e2
	s_mov_b32 s44, s20
	v_add_f64 v[120:121], v[92:93], v[120:121]
	;; [unrolled: 5-line block ×6, first 2 shown]
	v_add_f64 v[106:107], v[90:91], v[98:99]
	v_add_f64 v[90:91], v[90:91], -v[98:99]
	v_fma_f64 v[118:119], s[34:35], v[104:105], v[116:117]
	v_fmac_f64_e32 v[116:117], s[14:15], v[104:105]
	v_fma_f64 v[126:127], s[44:45], v[104:105], v[124:125]
	v_fmac_f64_e32 v[124:125], s[20:21], v[104:105]
	;; [unrolled: 2-line block ×6, first 2 shown]
	v_add_f64 v[104:105], v[88:89], v[96:97]
	v_add_f64 v[88:89], v[88:89], -v[96:97]
	v_mul_f64 v[96:97], v[90:91], s[20:21]
	v_fma_f64 v[98:99], s[10:11], v[104:105], v[96:97]
	v_add_f64 v[98:99], v[98:99], v[110:111]
	v_mul_f64 v[110:111], v[106:107], s[10:11]
	v_add_f64 v[116:117], v[94:95], v[116:117]
	v_fma_f64 v[112:113], s[44:45], v[88:89], v[110:111]
	v_fma_f64 v[96:97], v[104:105], s[10:11], -v[96:97]
	v_fmac_f64_e32 v[110:111], s[20:21], v[88:89]
	v_add_f64 v[96:97], v[96:97], v[108:109]
	v_add_f64 v[108:109], v[110:111], v[116:117]
	v_mul_f64 v[110:111], v[90:91], s[28:29]
	v_add_f64 v[118:119], v[94:95], v[118:119]
	v_add_f64 v[126:127], v[94:95], v[126:127]
	;; [unrolled: 1-line block ×11, first 2 shown]
	v_fma_f64 v[114:115], s[18:19], v[104:105], v[110:111]
	v_mul_f64 v[116:117], v[106:107], s[18:19]
	v_fma_f64 v[110:111], v[104:105], s[18:19], -v[110:111]
	v_add_f64 v[112:113], v[112:113], v[118:119]
	v_fma_f64 v[118:119], s[42:43], v[88:89], v[116:117]
	v_add_f64 v[110:111], v[110:111], v[120:121]
	v_fmac_f64_e32 v[116:117], s[28:29], v[88:89]
	v_mul_f64 v[120:121], v[90:91], s[36:37]
	v_add_f64 v[114:115], v[114:115], v[122:123]
	v_add_f64 v[116:117], v[116:117], v[124:125]
	v_fma_f64 v[122:123], s[26:27], v[104:105], v[120:121]
	v_mul_f64 v[124:125], v[106:107], s[26:27]
	v_fma_f64 v[120:121], v[104:105], s[26:27], -v[120:121]
	v_add_f64 v[118:119], v[118:119], v[126:127]
	v_fma_f64 v[126:127], s[46:47], v[88:89], v[124:125]
	v_add_f64 v[120:121], v[120:121], v[128:129]
	v_fmac_f64_e32 v[124:125], s[36:37], v[88:89]
	v_mul_f64 v[128:129], v[90:91], s[40:41]
	v_add_f64 v[122:123], v[122:123], v[130:131]
	v_add_f64 v[124:125], v[124:125], v[138:139]
	;; [unrolled: 10-line block ×3, first 2 shown]
	v_fma_f64 v[144:145], s[12:13], v[104:105], v[142:143]
	v_mul_f64 v[146:147], v[106:107], s[12:13]
	v_mul_f64 v[106:107], v[106:107], s[4:5]
	v_add_f64 v[144:145], v[144:145], v[152:153]
	v_fma_f64 v[142:143], v[104:105], s[12:13], -v[142:143]
	v_mul_f64 v[90:91], v[90:91], s[34:35]
	v_fma_f64 v[152:153], s[14:15], v[88:89], v[106:107]
	v_fmac_f64_e32 v[106:107], s[34:35], v[88:89]
	v_add_f64 v[140:141], v[140:141], v[148:149]
	v_fma_f64 v[148:149], s[24:25], v[88:89], v[146:147]
	v_add_f64 v[142:143], v[142:143], v[150:151]
	v_fmac_f64_e32 v[146:147], s[38:39], v[88:89]
	v_fma_f64 v[150:151], s[4:5], v[104:105], v[90:91]
	v_fma_f64 v[90:91], v[104:105], s[4:5], -v[90:91]
	v_add_f64 v[88:89], v[106:107], v[94:95]
	v_add_f64 v[94:95], v[82:83], v[86:87]
	v_add_f64 v[82:83], v[82:83], -v[86:87]
	v_add_f64 v[90:91], v[90:91], v[92:93]
	v_add_f64 v[92:93], v[80:81], v[84:85]
	v_add_f64 v[80:81], v[80:81], -v[84:85]
	v_mul_f64 v[84:85], v[82:83], s[24:25]
	v_fma_f64 v[86:87], s[12:13], v[92:93], v[84:85]
	v_add_f64 v[86:87], v[86:87], v[98:99]
	v_mul_f64 v[98:99], v[94:95], s[12:13]
	v_fma_f64 v[104:105], s[38:39], v[80:81], v[98:99]
	v_fma_f64 v[84:85], v[92:93], s[12:13], -v[84:85]
	v_fmac_f64_e32 v[98:99], s[24:25], v[80:81]
	v_add_f64 v[84:85], v[84:85], v[96:97]
	v_add_f64 v[96:97], v[98:99], v[108:109]
	v_mul_f64 v[98:99], v[82:83], s[36:37]
	v_fma_f64 v[106:107], s[26:27], v[92:93], v[98:99]
	v_fma_f64 v[98:99], v[92:93], s[26:27], -v[98:99]
	v_mul_f64 v[108:109], v[94:95], s[26:27]
	v_add_f64 v[98:99], v[98:99], v[110:111]
	v_mul_f64 v[110:111], v[82:83], s[42:43]
	v_add_f64 v[104:105], v[104:105], v[112:113]
	v_add_f64 v[106:107], v[106:107], v[114:115]
	v_fma_f64 v[112:113], s[46:47], v[80:81], v[108:109]
	v_fmac_f64_e32 v[108:109], s[36:37], v[80:81]
	v_fma_f64 v[114:115], s[18:19], v[92:93], v[110:111]
	v_fma_f64 v[110:111], v[92:93], s[18:19], -v[110:111]
	v_add_f64 v[108:109], v[108:109], v[116:117]
	v_mul_f64 v[116:117], v[94:95], s[18:19]
	v_add_f64 v[110:111], v[110:111], v[120:121]
	v_mul_f64 v[120:121], v[82:83], s[34:35]
	v_add_f64 v[112:113], v[112:113], v[118:119]
	v_add_f64 v[114:115], v[114:115], v[122:123]
	v_fma_f64 v[118:119], s[28:29], v[80:81], v[116:117]
	v_fmac_f64_e32 v[116:117], s[42:43], v[80:81]
	v_fma_f64 v[122:123], s[4:5], v[92:93], v[120:121]
	v_fma_f64 v[120:121], v[92:93], s[4:5], -v[120:121]
	v_add_f64 v[116:117], v[116:117], v[124:125]
	v_mul_f64 v[124:125], v[94:95], s[4:5]
	v_add_f64 v[120:121], v[120:121], v[128:129]
	v_mul_f64 v[128:129], v[82:83], s[20:21]
	v_add_f64 v[118:119], v[118:119], v[126:127]
	v_add_f64 v[122:123], v[122:123], v[130:131]
	v_fma_f64 v[126:127], s[14:15], v[80:81], v[124:125]
	v_fmac_f64_e32 v[124:125], s[34:35], v[80:81]
	v_fma_f64 v[130:131], s[10:11], v[92:93], v[128:129]
	v_fma_f64 v[128:129], v[92:93], s[10:11], -v[128:129]
	v_mul_f64 v[82:83], v[82:83], s[30:31]
	v_add_f64 v[124:125], v[124:125], v[138:139]
	v_mul_f64 v[138:139], v[94:95], s[10:11]
	v_add_f64 v[128:129], v[128:129], v[142:143]
	v_fma_f64 v[142:143], s[22:23], v[92:93], v[82:83]
	v_mul_f64 v[94:95], v[94:95], s[22:23]
	v_fma_f64 v[82:83], v[92:93], s[22:23], -v[82:83]
	v_add_f64 v[130:131], v[130:131], v[144:145]
	v_fma_f64 v[144:145], s[40:41], v[80:81], v[94:95]
	v_add_f64 v[82:83], v[82:83], v[90:91]
	v_fmac_f64_e32 v[94:95], s[30:31], v[80:81]
	v_add_f64 v[90:91], v[74:75], v[78:79]
	v_add_f64 v[74:75], v[74:75], -v[78:79]
	v_add_f64 v[126:127], v[126:127], v[140:141]
	v_fma_f64 v[140:141], s[44:45], v[80:81], v[138:139]
	v_fmac_f64_e32 v[138:139], s[20:21], v[80:81]
	v_add_f64 v[80:81], v[94:95], v[88:89]
	v_add_f64 v[88:89], v[72:73], v[76:77]
	v_add_f64 v[72:73], v[72:73], -v[76:77]
	v_mul_f64 v[76:77], v[74:75], s[28:29]
	v_fma_f64 v[78:79], s[18:19], v[88:89], v[76:77]
	v_add_f64 v[78:79], v[78:79], v[86:87]
	v_mul_f64 v[86:87], v[90:91], s[18:19]
	v_fma_f64 v[92:93], s[42:43], v[72:73], v[86:87]
	v_fma_f64 v[76:77], v[88:89], s[18:19], -v[76:77]
	v_fmac_f64_e32 v[86:87], s[28:29], v[72:73]
	v_add_f64 v[76:77], v[76:77], v[84:85]
	v_add_f64 v[84:85], v[86:87], v[96:97]
	v_mul_f64 v[86:87], v[74:75], s[40:41]
	v_fma_f64 v[94:95], s[22:23], v[88:89], v[86:87]
	v_fma_f64 v[86:87], v[88:89], s[22:23], -v[86:87]
	v_add_f64 v[86:87], v[86:87], v[98:99]
	v_mul_f64 v[98:99], v[74:75], s[34:35]
	v_add_f64 v[94:95], v[94:95], v[106:107]
	v_mul_f64 v[96:97], v[90:91], s[22:23]
	v_fma_f64 v[106:107], s[4:5], v[88:89], v[98:99]
	v_fma_f64 v[98:99], v[88:89], s[4:5], -v[98:99]
	v_add_f64 v[92:93], v[92:93], v[104:105]
	v_fma_f64 v[104:105], s[30:31], v[72:73], v[96:97]
	v_fmac_f64_e32 v[96:97], s[40:41], v[72:73]
	v_add_f64 v[98:99], v[98:99], v[110:111]
	v_mul_f64 v[110:111], v[74:75], s[24:25]
	v_add_f64 v[96:97], v[96:97], v[108:109]
	v_add_f64 v[106:107], v[106:107], v[114:115]
	v_mul_f64 v[108:109], v[90:91], s[4:5]
	v_fma_f64 v[114:115], s[12:13], v[88:89], v[110:111]
	v_add_f64 v[104:105], v[104:105], v[112:113]
	v_fma_f64 v[112:113], s[14:15], v[72:73], v[108:109]
	v_fmac_f64_e32 v[108:109], s[34:35], v[72:73]
	v_add_f64 v[122:123], v[114:115], v[122:123]
	v_mul_f64 v[114:115], v[90:91], s[12:13]
	v_fma_f64 v[110:111], v[88:89], s[12:13], -v[110:111]
	v_add_f64 v[108:109], v[108:109], v[116:117]
	v_fma_f64 v[116:117], s[38:39], v[72:73], v[114:115]
	v_add_f64 v[120:121], v[110:111], v[120:121]
	v_fmac_f64_e32 v[114:115], s[24:25], v[72:73]
	v_mul_f64 v[110:111], v[74:75], s[46:47]
	v_add_f64 v[150:151], v[150:151], v[158:159]
	v_add_f64 v[124:125], v[114:115], v[124:125]
	v_fma_f64 v[114:115], s[26:27], v[88:89], v[110:111]
	v_fma_f64 v[110:111], v[88:89], s[26:27], -v[110:111]
	v_mul_f64 v[74:75], v[74:75], s[44:45]
	v_add_f64 v[142:143], v[142:143], v[150:151]
	v_add_f64 v[130:131], v[114:115], v[130:131]
	v_mul_f64 v[114:115], v[90:91], s[26:27]
	v_add_f64 v[128:129], v[110:111], v[128:129]
	v_fma_f64 v[110:111], s[10:11], v[88:89], v[74:75]
	v_mul_f64 v[90:91], v[90:91], s[10:11]
	v_add_f64 v[148:149], v[148:149], v[156:157]
	v_add_f64 v[142:143], v[110:111], v[142:143]
	v_fma_f64 v[110:111], s[20:21], v[72:73], v[90:91]
	v_fmac_f64_e32 v[90:91], s[44:45], v[72:73]
	v_add_f64 v[150:151], v[66:67], -v[70:71]
	v_add_f64 v[146:147], v[146:147], v[154:155]
	v_add_f64 v[140:141], v[140:141], v[148:149]
	v_add_f64 v[126:127], v[116:117], v[126:127]
	v_fma_f64 v[116:117], s[36:37], v[72:73], v[114:115]
	v_fmac_f64_e32 v[114:115], s[46:47], v[72:73]
	v_add_f64 v[72:73], v[90:91], v[80:81]
	v_add_f64 v[90:91], v[64:65], v[68:69]
	v_add_f64 v[148:149], v[64:65], -v[68:69]
	v_mul_f64 v[64:65], v[150:151], s[30:31]
	v_add_f64 v[138:139], v[138:139], v[146:147]
	v_add_f64 v[146:147], v[66:67], v[70:71]
	v_fma_f64 v[66:67], s[22:23], v[90:91], v[64:65]
	v_fma_f64 v[64:65], v[90:91], s[22:23], -v[64:65]
	v_add_f64 v[152:153], v[152:153], v[160:161]
	v_add_f64 v[112:113], v[112:113], v[118:119]
	;; [unrolled: 1-line block ×3, first 2 shown]
	v_mul_f64 v[76:77], v[150:151], s[20:21]
	v_add_f64 v[144:145], v[144:145], v[152:153]
	v_add_f64 v[152:153], v[66:67], v[78:79]
	v_mul_f64 v[66:67], v[146:147], s[22:23]
	v_fma_f64 v[78:79], s[10:11], v[90:91], v[76:77]
	v_add_f64 v[138:139], v[114:115], v[138:139]
	v_fma_f64 v[68:69], s[40:41], v[148:149], v[66:67]
	v_fmac_f64_e32 v[66:67], s[30:31], v[148:149]
	v_mul_f64 v[64:65], v[150:151], s[38:39]
	v_add_f64 v[114:115], v[78:79], v[106:107]
	v_mul_f64 v[78:79], v[146:147], s[10:11]
	v_fma_f64 v[76:77], v[90:91], s[10:11], -v[76:77]
	v_add_f64 v[140:141], v[116:117], v[140:141]
	v_add_f64 v[144:145], v[110:111], v[144:145]
	;; [unrolled: 1-line block ×3, first 2 shown]
	v_fma_f64 v[66:67], s[12:13], v[90:91], v[64:65]
	v_fma_f64 v[80:81], s[44:45], v[148:149], v[78:79]
	v_add_f64 v[110:111], v[76:77], v[98:99]
	v_fmac_f64_e32 v[78:79], s[20:21], v[148:149]
	v_mul_f64 v[76:77], v[150:151], s[46:47]
	v_add_f64 v[154:155], v[68:69], v[92:93]
	v_add_f64 v[68:69], v[66:67], v[94:95]
	v_mul_f64 v[66:67], v[146:147], s[12:13]
	v_add_f64 v[108:109], v[78:79], v[108:109]
	v_fma_f64 v[78:79], s[26:27], v[90:91], v[76:77]
	v_fma_f64 v[70:71], s[24:25], v[148:149], v[66:67]
	v_fmac_f64_e32 v[66:67], s[38:39], v[148:149]
	v_add_f64 v[106:107], v[78:79], v[122:123]
	v_mul_f64 v[78:79], v[146:147], s[26:27]
	v_fma_f64 v[76:77], v[90:91], s[26:27], -v[76:77]
	v_add_f64 v[66:67], v[66:67], v[96:97]
	v_add_f64 v[112:113], v[80:81], v[112:113]
	v_fma_f64 v[80:81], s[36:37], v[148:149], v[78:79]
	v_add_f64 v[96:97], v[76:77], v[120:121]
	v_fmac_f64_e32 v[78:79], s[46:47], v[148:149]
	v_mul_f64 v[76:77], v[150:151], s[34:35]
	v_add_f64 v[94:95], v[78:79], v[124:125]
	v_fma_f64 v[78:79], s[4:5], v[90:91], v[76:77]
	v_fma_f64 v[74:75], v[88:89], s[10:11], -v[74:75]
	v_add_f64 v[88:89], v[78:79], v[130:131]
	v_mul_f64 v[78:79], v[146:147], s[4:5]
	v_fma_f64 v[76:77], v[90:91], s[4:5], -v[76:77]
	v_mul_f64 v[84:85], v[150:151], s[28:29]
	v_add_f64 v[74:75], v[74:75], v[82:83]
	v_add_f64 v[70:71], v[70:71], v[104:105]
	v_fma_f64 v[64:65], v[90:91], s[12:13], -v[64:65]
	v_add_f64 v[104:105], v[80:81], v[126:127]
	v_fma_f64 v[80:81], s[14:15], v[148:149], v[78:79]
	v_add_f64 v[82:83], v[76:77], v[128:129]
	v_fmac_f64_e32 v[78:79], s[34:35], v[148:149]
	v_fma_f64 v[76:77], s[18:19], v[90:91], v[84:85]
	v_mul_f64 v[92:93], v[146:147], s[18:19]
	v_fma_f64 v[84:85], v[90:91], s[18:19], -v[84:85]
	v_add_f64 v[98:99], v[58:59], -v[62:63]
	v_add_f64 v[64:65], v[64:65], v[86:87]
	v_add_f64 v[86:87], v[80:81], v[140:141]
	;; [unrolled: 1-line block ×4, first 2 shown]
	v_fma_f64 v[76:77], s[42:43], v[148:149], v[92:93]
	v_add_f64 v[74:75], v[84:85], v[74:75]
	v_fmac_f64_e32 v[92:93], s[28:29], v[148:149]
	v_add_f64 v[90:91], v[56:57], v[60:61]
	v_add_f64 v[84:85], v[56:57], -v[60:61]
	v_mul_f64 v[56:57], v[98:99], s[36:37]
	v_add_f64 v[72:73], v[92:93], v[72:73]
	v_add_f64 v[92:93], v[58:59], v[62:63]
	v_fma_f64 v[58:59], s[26:27], v[90:91], v[56:57]
	v_add_f64 v[60:61], v[58:59], v[152:153]
	v_mul_f64 v[58:59], v[92:93], s[26:27]
	v_fma_f64 v[62:63], s[46:47], v[84:85], v[58:59]
	v_fmac_f64_e32 v[58:59], s[36:37], v[84:85]
	v_fma_f64 v[56:57], v[90:91], s[26:27], -v[56:57]
	v_add_f64 v[58:59], v[58:59], v[116:117]
	v_mul_f64 v[116:117], v[98:99], s[34:35]
	v_add_f64 v[56:57], v[56:57], v[118:119]
	v_fma_f64 v[118:119], s[4:5], v[90:91], v[116:117]
	v_add_f64 v[68:69], v[118:119], v[68:69]
	v_mul_f64 v[118:119], v[92:93], s[4:5]
	v_fma_f64 v[120:121], s[14:15], v[84:85], v[118:119]
	v_fmac_f64_e32 v[118:119], s[34:35], v[84:85]
	v_fma_f64 v[116:117], v[90:91], s[4:5], -v[116:117]
	v_add_f64 v[66:67], v[118:119], v[66:67]
	v_mul_f64 v[118:119], v[98:99], s[30:31]
	v_add_f64 v[70:71], v[120:121], v[70:71]
	v_add_f64 v[64:65], v[116:117], v[64:65]
	v_fma_f64 v[116:117], s[22:23], v[90:91], v[118:119]
	v_mul_f64 v[120:121], v[92:93], s[22:23]
	v_add_f64 v[114:115], v[116:117], v[114:115]
	v_fma_f64 v[116:117], s[40:41], v[84:85], v[120:121]
	v_add_f64 v[116:117], v[116:117], v[112:113]
	v_fma_f64 v[112:113], v[90:91], s[22:23], -v[118:119]
	v_fmac_f64_e32 v[120:121], s[30:31], v[84:85]
	v_mul_f64 v[118:119], v[98:99], s[44:45]
	v_add_f64 v[110:111], v[112:113], v[110:111]
	v_add_f64 v[112:113], v[120:121], v[108:109]
	v_fma_f64 v[108:109], s[10:11], v[90:91], v[118:119]
	v_mul_f64 v[120:121], v[92:93], s[10:11]
	v_add_f64 v[106:107], v[108:109], v[106:107]
	v_fma_f64 v[108:109], s[20:21], v[84:85], v[120:121]
	v_add_f64 v[108:109], v[108:109], v[104:105]
	v_fma_f64 v[104:105], v[90:91], s[10:11], -v[118:119]
	v_add_f64 v[118:119], v[104:105], v[96:97]
	v_fmac_f64_e32 v[120:121], s[44:45], v[84:85]
	v_mul_f64 v[104:105], v[98:99], s[28:29]
	v_add_f64 v[120:121], v[120:121], v[94:95]
	v_fma_f64 v[94:95], s[18:19], v[90:91], v[104:105]
	v_add_f64 v[94:95], v[94:95], v[88:89]
	v_mul_f64 v[88:89], v[92:93], s[18:19]
	v_fma_f64 v[96:97], s[42:43], v[84:85], v[88:89]
	v_add_f64 v[96:97], v[96:97], v[86:87]
	v_fma_f64 v[86:87], v[90:91], s[18:19], -v[104:105]
	v_add_f64 v[86:87], v[86:87], v[82:83]
	v_fmac_f64_e32 v[88:89], s[28:29], v[84:85]
	v_mul_f64 v[82:83], v[98:99], s[38:39]
	v_add_f64 v[88:89], v[88:89], v[80:81]
	v_fma_f64 v[80:81], s[12:13], v[90:91], v[82:83]
	v_mul_f64 v[92:93], v[92:93], s[12:13]
	v_add_f64 v[76:77], v[76:77], v[144:145]
	v_add_f64 v[78:79], v[80:81], v[78:79]
	v_fma_f64 v[80:81], s[24:25], v[84:85], v[92:93]
	v_add_f64 v[80:81], v[80:81], v[76:77]
	v_fma_f64 v[76:77], v[90:91], s[12:13], -v[82:83]
	v_fmac_f64_e32 v[92:93], s[38:39], v[84:85]
	s_movk_i32 s0, 0xd0
	v_add_f64 v[74:75], v[76:77], v[74:75]
	v_add_f64 v[76:77], v[92:93], v[72:73]
	v_mad_u32_u24 v72, v132, s0, v133
	v_cmp_gt_u32_e64 s[0:1], 12, v132
	v_add_f64 v[62:63], v[62:63], v[154:155]
	s_waitcnt lgkmcnt(0)
	; wave barrier
	s_waitcnt lgkmcnt(0)
	ds_write_b128 v72, v[52:55]
	ds_write_b128 v72, v[60:63] offset:16
	ds_write_b128 v72, v[68:71] offset:32
	;; [unrolled: 1-line block ×12, first 2 shown]
	s_and_saveexec_b64 s[48:49], s[0:1]
	s_cbranch_execz .LBB0_15
; %bb.14:
	v_add_f64 v[118:119], v[4:5], -v[48:49]
	v_add_f64 v[116:117], v[8:9], -v[44:45]
	v_mul_f64 v[72:73], v[118:119], s[36:37]
	v_add_f64 v[90:91], v[6:7], v[50:51]
	v_add_f64 v[130:131], v[6:7], -v[50:51]
	v_add_f64 v[114:115], v[12:13], -v[40:41]
	v_mul_f64 v[68:69], v[116:117], s[34:35]
	v_add_f64 v[88:89], v[10:11], v[46:47]
	v_fma_f64 v[74:75], s[26:27], v[90:91], v[72:73]
	v_add_f64 v[128:129], v[10:11], -v[46:47]
	v_add_f64 v[106:107], v[4:5], v[48:49]
	v_mul_f64 v[144:145], v[130:131], s[36:37]
	v_add_f64 v[112:113], v[16:17], -v[36:37]
	v_mul_f64 v[64:65], v[114:115], s[30:31]
	v_add_f64 v[86:87], v[14:15], v[42:43]
	v_fma_f64 v[70:71], s[4:5], v[88:89], v[68:69]
	v_add_f64 v[74:75], v[2:3], v[74:75]
	v_add_f64 v[126:127], v[14:15], -v[42:43]
	v_add_f64 v[104:105], v[8:9], v[44:45]
	v_mul_f64 v[140:141], v[128:129], s[34:35]
	v_fma_f64 v[146:147], v[106:107], s[26:27], -v[144:145]
	v_add_f64 v[110:111], v[20:21], -v[32:33]
	v_mul_f64 v[60:61], v[112:113], s[44:45]
	v_add_f64 v[84:85], v[18:19], v[38:39]
	v_fma_f64 v[66:67], s[22:23], v[86:87], v[64:65]
	v_add_f64 v[70:71], v[70:71], v[74:75]
	v_add_f64 v[124:125], v[18:19], -v[38:39]
	v_add_f64 v[98:99], v[12:13], v[40:41]
	v_mul_f64 v[78:79], v[126:127], s[30:31]
	v_fma_f64 v[142:143], v[104:105], s[4:5], -v[140:141]
	v_add_f64 v[146:147], v[0:1], v[146:147]
	v_add_f64 v[108:109], v[24:25], -v[28:29]
	v_mul_f64 v[58:59], v[110:111], s[28:29]
	v_add_f64 v[82:83], v[22:23], v[34:35]
	v_fma_f64 v[62:63], s[10:11], v[84:85], v[60:61]
	v_add_f64 v[66:67], v[66:67], v[70:71]
	v_add_f64 v[122:123], v[22:23], -v[34:35]
	v_add_f64 v[96:97], v[16:17], v[36:37]
	v_mul_f64 v[74:75], v[124:125], s[44:45]
	v_fma_f64 v[138:139], v[98:99], s[22:23], -v[78:79]
	v_add_f64 v[142:143], v[142:143], v[146:147]
	v_mul_f64 v[56:57], v[108:109], s[38:39]
	v_add_f64 v[80:81], v[26:27], v[30:31]
	v_fma_f64 v[54:55], s[18:19], v[82:83], v[58:59]
	v_add_f64 v[62:63], v[62:63], v[66:67]
	v_add_f64 v[120:121], v[26:27], -v[30:31]
	v_add_f64 v[94:95], v[20:21], v[32:33]
	v_mul_f64 v[66:67], v[122:123], s[28:29]
	v_fma_f64 v[76:77], v[96:97], s[10:11], -v[74:75]
	v_add_f64 v[138:139], v[138:139], v[142:143]
	v_fma_f64 v[52:53], s[12:13], v[80:81], v[56:57]
	v_add_f64 v[54:55], v[54:55], v[62:63]
	v_add_f64 v[92:93], v[24:25], v[28:29]
	v_mul_f64 v[62:63], v[120:121], s[38:39]
	v_fma_f64 v[70:71], v[94:95], s[18:19], -v[66:67]
	v_add_f64 v[76:77], v[76:77], v[138:139]
	v_add_f64 v[54:55], v[52:53], v[54:55]
	v_fma_f64 v[52:53], v[92:93], s[12:13], -v[62:63]
	v_add_f64 v[70:71], v[70:71], v[76:77]
	v_add_f64 v[52:53], v[52:53], v[70:71]
	v_fma_f64 v[70:71], v[90:91], s[26:27], -v[72:73]
	v_fma_f64 v[68:69], v[88:89], s[4:5], -v[68:69]
	v_add_f64 v[70:71], v[2:3], v[70:71]
	v_fma_f64 v[64:65], v[86:87], s[22:23], -v[64:65]
	v_add_f64 v[68:69], v[68:69], v[70:71]
	;; [unrolled: 2-line block ×5, first 2 shown]
	v_fmac_f64_e32 v[144:145], s[26:27], v[106:107]
	v_add_f64 v[58:59], v[56:57], v[58:59]
	v_fmac_f64_e32 v[140:141], s[4:5], v[104:105]
	v_add_f64 v[56:57], v[0:1], v[144:145]
	v_mul_f64 v[138:139], v[118:119], s[30:31]
	v_fmac_f64_e32 v[78:79], s[22:23], v[98:99]
	v_add_f64 v[56:57], v[140:141], v[56:57]
	v_mul_f64 v[76:77], v[116:117], s[38:39]
	v_fma_f64 v[140:141], s[22:23], v[90:91], v[138:139]
	v_mul_f64 v[152:153], v[130:131], s[30:31]
	v_fmac_f64_e32 v[74:75], s[10:11], v[96:97]
	v_add_f64 v[56:57], v[78:79], v[56:57]
	v_mul_f64 v[72:73], v[114:115], s[20:21]
	v_fma_f64 v[78:79], s[12:13], v[88:89], v[76:77]
	v_add_f64 v[140:141], v[2:3], v[140:141]
	v_mul_f64 v[148:149], v[128:129], s[38:39]
	v_fma_f64 v[154:155], v[106:107], s[22:23], -v[152:153]
	v_fmac_f64_e32 v[66:67], s[18:19], v[94:95]
	v_add_f64 v[56:57], v[74:75], v[56:57]
	v_mul_f64 v[68:69], v[112:113], s[46:47]
	v_fma_f64 v[74:75], s[10:11], v[86:87], v[72:73]
	v_add_f64 v[78:79], v[78:79], v[140:141]
	v_mul_f64 v[144:145], v[126:127], s[20:21]
	v_fma_f64 v[150:151], v[104:105], s[12:13], -v[148:149]
	v_add_f64 v[154:155], v[0:1], v[154:155]
	v_fmac_f64_e32 v[62:63], s[12:13], v[92:93]
	v_add_f64 v[56:57], v[66:67], v[56:57]
	v_mul_f64 v[66:67], v[110:111], s[34:35]
	v_fma_f64 v[70:71], s[26:27], v[84:85], v[68:69]
	v_add_f64 v[74:75], v[74:75], v[78:79]
	v_mul_f64 v[140:141], v[124:125], s[46:47]
	v_fma_f64 v[146:147], v[98:99], s[10:11], -v[144:145]
	v_add_f64 v[150:151], v[150:151], v[154:155]
	v_add_f64 v[56:57], v[62:63], v[56:57]
	v_mul_f64 v[64:65], v[108:109], s[28:29]
	v_fma_f64 v[62:63], s[4:5], v[82:83], v[66:67]
	v_add_f64 v[70:71], v[70:71], v[74:75]
	v_mul_f64 v[74:75], v[122:123], s[34:35]
	v_fma_f64 v[142:143], v[96:97], s[26:27], -v[140:141]
	v_add_f64 v[146:147], v[146:147], v[150:151]
	v_fma_f64 v[60:61], s[18:19], v[80:81], v[64:65]
	v_add_f64 v[62:63], v[62:63], v[70:71]
	v_mul_f64 v[70:71], v[120:121], s[28:29]
	v_fma_f64 v[78:79], v[94:95], s[4:5], -v[74:75]
	v_add_f64 v[142:143], v[142:143], v[146:147]
	v_add_f64 v[62:63], v[60:61], v[62:63]
	v_fma_f64 v[60:61], v[92:93], s[18:19], -v[70:71]
	v_add_f64 v[78:79], v[78:79], v[142:143]
	v_add_f64 v[60:61], v[60:61], v[78:79]
	v_fma_f64 v[78:79], v[90:91], s[22:23], -v[138:139]
	v_fma_f64 v[76:77], v[88:89], s[12:13], -v[76:77]
	v_add_f64 v[78:79], v[2:3], v[78:79]
	v_fma_f64 v[72:73], v[86:87], s[10:11], -v[72:73]
	v_add_f64 v[76:77], v[76:77], v[78:79]
	;; [unrolled: 2-line block ×5, first 2 shown]
	v_fmac_f64_e32 v[152:153], s[22:23], v[106:107]
	v_add_f64 v[66:67], v[64:65], v[66:67]
	v_fmac_f64_e32 v[148:149], s[12:13], v[104:105]
	v_add_f64 v[64:65], v[0:1], v[152:153]
	v_mul_f64 v[146:147], v[118:119], s[28:29]
	v_fmac_f64_e32 v[144:145], s[10:11], v[98:99]
	v_add_f64 v[64:65], v[148:149], v[64:65]
	v_mul_f64 v[142:143], v[116:117], s[40:41]
	v_fma_f64 v[148:149], s[18:19], v[90:91], v[146:147]
	v_mul_f64 v[158:159], v[130:131], s[28:29]
	v_fmac_f64_e32 v[140:141], s[26:27], v[96:97]
	v_add_f64 v[64:65], v[144:145], v[64:65]
	v_mul_f64 v[138:139], v[114:115], s[34:35]
	v_fma_f64 v[144:145], s[22:23], v[88:89], v[142:143]
	v_add_f64 v[148:149], v[2:3], v[148:149]
	v_mul_f64 v[154:155], v[128:129], s[40:41]
	v_fma_f64 v[160:161], v[106:107], s[18:19], -v[158:159]
	v_fmac_f64_e32 v[74:75], s[4:5], v[94:95]
	v_add_f64 v[64:65], v[140:141], v[64:65]
	v_mul_f64 v[76:77], v[112:113], s[24:25]
	v_fma_f64 v[140:141], s[4:5], v[86:87], v[138:139]
	v_add_f64 v[144:145], v[144:145], v[148:149]
	v_mul_f64 v[152:153], v[126:127], s[34:35]
	v_fma_f64 v[156:157], v[104:105], s[22:23], -v[154:155]
	v_add_f64 v[160:161], v[0:1], v[160:161]
	v_fmac_f64_e32 v[70:71], s[18:19], v[92:93]
	v_add_f64 v[64:65], v[74:75], v[64:65]
	v_mul_f64 v[74:75], v[110:111], s[46:47]
	v_fma_f64 v[78:79], s[12:13], v[84:85], v[76:77]
	v_add_f64 v[140:141], v[140:141], v[144:145]
	v_mul_f64 v[148:149], v[124:125], s[24:25]
	v_add_f64 v[156:157], v[156:157], v[160:161]
	v_fma_f64 v[160:161], v[98:99], s[4:5], -v[152:153]
	v_add_f64 v[64:65], v[70:71], v[64:65]
	v_mul_f64 v[72:73], v[108:109], s[44:45]
	v_fma_f64 v[70:71], s[26:27], v[82:83], v[74:75]
	v_add_f64 v[78:79], v[78:79], v[140:141]
	v_mul_f64 v[140:141], v[122:123], s[46:47]
	v_fma_f64 v[150:151], v[96:97], s[12:13], -v[148:149]
	v_add_f64 v[156:157], v[160:161], v[156:157]
	v_fma_f64 v[68:69], s[10:11], v[80:81], v[72:73]
	v_add_f64 v[70:71], v[70:71], v[78:79]
	v_mul_f64 v[78:79], v[120:121], s[44:45]
	v_fma_f64 v[144:145], v[94:95], s[26:27], -v[140:141]
	v_add_f64 v[150:151], v[150:151], v[156:157]
	v_add_f64 v[70:71], v[68:69], v[70:71]
	v_fma_f64 v[68:69], v[92:93], s[10:11], -v[78:79]
	v_add_f64 v[144:145], v[144:145], v[150:151]
	v_add_f64 v[68:69], v[68:69], v[144:145]
	v_fma_f64 v[144:145], v[90:91], s[18:19], -v[146:147]
	v_fma_f64 v[142:143], v[88:89], s[22:23], -v[142:143]
	v_add_f64 v[144:145], v[2:3], v[144:145]
	v_fma_f64 v[138:139], v[86:87], s[4:5], -v[138:139]
	v_add_f64 v[142:143], v[142:143], v[144:145]
	v_fma_f64 v[76:77], v[84:85], s[12:13], -v[76:77]
	v_add_f64 v[138:139], v[138:139], v[142:143]
	v_fma_f64 v[74:75], v[82:83], s[26:27], -v[74:75]
	v_add_f64 v[76:77], v[76:77], v[138:139]
	v_fma_f64 v[72:73], v[80:81], s[10:11], -v[72:73]
	v_add_f64 v[74:75], v[74:75], v[76:77]
	v_fmac_f64_e32 v[158:159], s[18:19], v[106:107]
	v_add_f64 v[74:75], v[72:73], v[74:75]
	v_fmac_f64_e32 v[154:155], s[22:23], v[104:105]
	v_add_f64 v[72:73], v[0:1], v[158:159]
	v_add_f64 v[72:73], v[154:155], v[72:73]
	v_mul_f64 v[154:155], v[118:119], s[24:25]
	v_fmac_f64_e32 v[152:153], s[4:5], v[98:99]
	v_mul_f64 v[150:151], v[116:117], s[36:37]
	v_fma_f64 v[156:157], s[12:13], v[90:91], v[154:155]
	v_fmac_f64_e32 v[148:149], s[12:13], v[96:97]
	v_add_f64 v[72:73], v[152:153], v[72:73]
	v_mul_f64 v[146:147], v[114:115], s[42:43]
	v_fma_f64 v[152:153], s[26:27], v[88:89], v[150:151]
	v_add_f64 v[156:157], v[2:3], v[156:157]
	v_fma_f64 v[154:155], v[90:91], s[12:13], -v[154:155]
	v_fmac_f64_e32 v[140:141], s[26:27], v[94:95]
	v_add_f64 v[72:73], v[148:149], v[72:73]
	v_mul_f64 v[142:143], v[112:113], s[34:35]
	v_fma_f64 v[148:149], s[18:19], v[86:87], v[146:147]
	v_add_f64 v[152:153], v[152:153], v[156:157]
	v_fma_f64 v[150:151], v[88:89], s[26:27], -v[150:151]
	v_add_f64 v[154:155], v[2:3], v[154:155]
	v_fmac_f64_e32 v[78:79], s[10:11], v[92:93]
	v_add_f64 v[72:73], v[140:141], v[72:73]
	v_mul_f64 v[140:141], v[110:111], s[20:21]
	v_fma_f64 v[144:145], s[4:5], v[84:85], v[142:143]
	v_add_f64 v[148:149], v[148:149], v[152:153]
	v_fma_f64 v[146:147], v[86:87], s[18:19], -v[146:147]
	v_add_f64 v[150:151], v[150:151], v[154:155]
	v_add_f64 v[72:73], v[78:79], v[72:73]
	v_mul_f64 v[138:139], v[108:109], s[30:31]
	v_fma_f64 v[78:79], s[10:11], v[82:83], v[140:141]
	v_add_f64 v[144:145], v[144:145], v[148:149]
	v_mul_f64 v[158:159], v[130:131], s[24:25]
	v_fma_f64 v[142:143], v[84:85], s[4:5], -v[142:143]
	v_add_f64 v[146:147], v[146:147], v[150:151]
	v_fma_f64 v[76:77], s[22:23], v[80:81], v[138:139]
	v_add_f64 v[78:79], v[78:79], v[144:145]
	v_mul_f64 v[156:157], v[128:129], s[36:37]
	v_fma_f64 v[160:161], v[106:107], s[12:13], -v[158:159]
	v_fma_f64 v[140:141], v[82:83], s[10:11], -v[140:141]
	v_add_f64 v[142:143], v[142:143], v[146:147]
	v_add_f64 v[78:79], v[76:77], v[78:79]
	v_mul_f64 v[152:153], v[126:127], s[42:43]
	v_fma_f64 v[76:77], v[104:105], s[26:27], -v[156:157]
	v_add_f64 v[160:161], v[0:1], v[160:161]
	v_fma_f64 v[138:139], v[80:81], s[22:23], -v[138:139]
	v_add_f64 v[140:141], v[140:141], v[142:143]
	v_fmac_f64_e32 v[158:159], s[12:13], v[106:107]
	v_mul_f64 v[148:149], v[124:125], s[34:35]
	v_add_f64 v[76:77], v[76:77], v[160:161]
	v_fma_f64 v[160:161], v[98:99], s[18:19], -v[152:153]
	v_add_f64 v[140:141], v[138:139], v[140:141]
	v_fmac_f64_e32 v[156:157], s[26:27], v[104:105]
	v_add_f64 v[138:139], v[0:1], v[158:159]
	v_mul_f64 v[144:145], v[122:123], s[20:21]
	v_add_f64 v[76:77], v[160:161], v[76:77]
	v_fma_f64 v[160:161], v[96:97], s[4:5], -v[148:149]
	v_fmac_f64_e32 v[152:153], s[18:19], v[98:99]
	v_add_f64 v[138:139], v[156:157], v[138:139]
	v_add_f64 v[76:77], v[160:161], v[76:77]
	v_fma_f64 v[160:161], v[94:95], s[10:11], -v[144:145]
	v_fmac_f64_e32 v[148:149], s[4:5], v[96:97]
	v_add_f64 v[138:139], v[152:153], v[138:139]
	v_add_f64 v[76:77], v[160:161], v[76:77]
	v_mul_f64 v[160:161], v[120:121], s[30:31]
	v_fmac_f64_e32 v[144:145], s[10:11], v[94:95]
	v_add_f64 v[138:139], v[148:149], v[138:139]
	v_fma_f64 v[162:163], v[92:93], s[22:23], -v[160:161]
	v_fmac_f64_e32 v[160:161], s[22:23], v[92:93]
	v_add_f64 v[138:139], v[144:145], v[138:139]
	v_mul_f64 v[158:159], v[118:119], s[20:21]
	v_add_f64 v[138:139], v[160:161], v[138:139]
	v_mul_f64 v[154:155], v[116:117], s[28:29]
	v_fma_f64 v[160:161], s[10:11], v[90:91], v[158:159]
	v_fma_f64 v[158:159], v[90:91], s[10:11], -v[158:159]
	v_mul_f64 v[150:151], v[114:115], s[36:37]
	v_fma_f64 v[156:157], s[18:19], v[88:89], v[154:155]
	v_add_f64 v[160:161], v[2:3], v[160:161]
	v_fma_f64 v[154:155], v[88:89], s[18:19], -v[154:155]
	v_add_f64 v[158:159], v[2:3], v[158:159]
	v_mul_f64 v[148:149], v[112:113], s[40:41]
	v_fma_f64 v[152:153], s[26:27], v[86:87], v[150:151]
	v_add_f64 v[156:157], v[156:157], v[160:161]
	v_add_f64 v[154:155], v[154:155], v[158:159]
	v_fma_f64 v[150:151], v[86:87], s[26:27], -v[150:151]
	v_mul_f64 v[146:147], v[110:111], s[38:39]
	v_fma_f64 v[144:145], s[22:23], v[84:85], v[148:149]
	v_add_f64 v[152:153], v[152:153], v[156:157]
	v_mul_f64 v[160:161], v[130:131], s[20:21]
	v_add_f64 v[150:151], v[150:151], v[154:155]
	v_fma_f64 v[148:149], v[84:85], s[22:23], -v[148:149]
	v_add_f64 v[76:77], v[162:163], v[76:77]
	v_fma_f64 v[142:143], s[12:13], v[82:83], v[146:147]
	v_add_f64 v[144:145], v[144:145], v[152:153]
	v_mul_f64 v[156:157], v[128:129], s[28:29]
	v_fma_f64 v[162:163], v[106:107], s[10:11], -v[160:161]
	v_mul_f64 v[168:169], v[108:109], s[34:35]
	v_add_f64 v[148:149], v[148:149], v[150:151]
	v_fma_f64 v[146:147], v[82:83], s[12:13], -v[146:147]
	v_add_f64 v[142:143], v[142:143], v[144:145]
	v_mul_f64 v[152:153], v[126:127], s[36:37]
	v_fma_f64 v[144:145], v[104:105], s[18:19], -v[156:157]
	v_add_f64 v[162:163], v[0:1], v[162:163]
	v_fma_f64 v[150:151], v[80:81], s[4:5], -v[168:169]
	v_add_f64 v[146:147], v[146:147], v[148:149]
	v_fmac_f64_e32 v[160:161], s[10:11], v[106:107]
	v_mul_f64 v[118:119], v[118:119], s[14:15]
	v_add_f64 v[144:145], v[144:145], v[162:163]
	v_fma_f64 v[162:163], v[98:99], s[26:27], -v[152:153]
	v_add_f64 v[148:149], v[150:151], v[146:147]
	v_add_f64 v[146:147], v[0:1], v[160:161]
	v_mul_f64 v[116:117], v[116:117], s[20:21]
	v_fma_f64 v[160:161], s[4:5], v[90:91], v[118:119]
	v_fma_f64 v[90:91], v[90:91], s[4:5], -v[118:119]
	v_add_f64 v[144:145], v[162:163], v[144:145]
	v_mul_f64 v[162:163], v[124:125], s[40:41]
	v_fmac_f64_e32 v[156:157], s[18:19], v[104:105]
	v_mul_f64 v[114:115], v[114:115], s[24:25]
	v_fma_f64 v[158:159], s[10:11], v[88:89], v[116:117]
	v_fma_f64 v[88:89], v[88:89], s[10:11], -v[116:117]
	v_add_f64 v[90:91], v[2:3], v[90:91]
	v_fma_f64 v[164:165], v[96:97], s[22:23], -v[162:163]
	v_fmac_f64_e32 v[152:153], s[26:27], v[98:99]
	v_add_f64 v[146:147], v[156:157], v[146:147]
	v_mul_f64 v[112:113], v[112:113], s[28:29]
	v_fma_f64 v[156:157], s[12:13], v[86:87], v[114:115]
	v_fma_f64 v[86:87], v[86:87], s[12:13], -v[114:115]
	v_add_f64 v[88:89], v[88:89], v[90:91]
	v_add_f64 v[144:145], v[164:165], v[144:145]
	v_mul_f64 v[164:165], v[122:123], s[38:39]
	v_add_f64 v[146:147], v[152:153], v[146:147]
	v_mul_f64 v[152:153], v[110:111], s[30:31]
	v_fma_f64 v[154:155], s[18:19], v[84:85], v[112:113]
	v_fma_f64 v[84:85], v[84:85], s[18:19], -v[112:113]
	v_add_f64 v[86:87], v[86:87], v[88:89]
	v_fma_f64 v[166:167], v[94:95], s[12:13], -v[164:165]
	v_mul_f64 v[150:151], v[108:109], s[36:37]
	v_fma_f64 v[110:111], s[22:23], v[82:83], v[152:153]
	v_add_f64 v[160:161], v[2:3], v[160:161]
	v_mul_f64 v[130:131], v[130:131], s[14:15]
	v_fma_f64 v[82:83], v[82:83], s[22:23], -v[152:153]
	v_add_f64 v[84:85], v[84:85], v[86:87]
	v_add_f64 v[166:167], v[166:167], v[144:145]
	v_fma_f64 v[144:145], s[4:5], v[80:81], v[168:169]
	v_fma_f64 v[108:109], s[26:27], v[80:81], v[150:151]
	v_add_f64 v[158:159], v[158:159], v[160:161]
	v_fma_f64 v[160:161], v[106:107], s[4:5], -v[130:131]
	v_fma_f64 v[80:81], v[80:81], s[26:27], -v[150:151]
	v_add_f64 v[82:83], v[82:83], v[84:85]
	v_fmac_f64_e32 v[130:131], s[4:5], v[106:107]
	v_add_f64 v[160:161], v[0:1], v[160:161]
	v_add_f64 v[82:83], v[80:81], v[82:83]
	;; [unrolled: 1-line block ×15, first 2 shown]
	v_mul_f64 v[128:129], v[128:129], s[20:21]
	v_add_f64 v[2:3], v[2:3], v[30:31]
	v_add_f64 v[0:1], v[0:1], v[28:29]
	;; [unrolled: 1-line block ×3, first 2 shown]
	v_mul_f64 v[126:127], v[126:127], s[24:25]
	v_fma_f64 v[158:159], v[104:105], s[10:11], -v[128:129]
	v_fmac_f64_e32 v[128:129], s[10:11], v[104:105]
	v_add_f64 v[2:3], v[2:3], v[34:35]
	v_add_f64 v[0:1], v[0:1], v[32:33]
	v_mul_f64 v[124:125], v[124:125], s[28:29]
	v_add_f64 v[158:159], v[158:159], v[160:161]
	v_fma_f64 v[160:161], v[98:99], s[12:13], -v[126:127]
	v_fmac_f64_e32 v[126:127], s[12:13], v[98:99]
	v_add_f64 v[80:81], v[128:129], v[80:81]
	v_add_f64 v[2:3], v[2:3], v[38:39]
	;; [unrolled: 1-line block ×3, first 2 shown]
	v_fmac_f64_e32 v[162:163], s[22:23], v[96:97]
	v_add_f64 v[154:155], v[154:155], v[156:157]
	v_mul_f64 v[122:123], v[122:123], s[30:31]
	v_fma_f64 v[156:157], v[96:97], s[18:19], -v[124:125]
	v_add_f64 v[158:159], v[160:161], v[158:159]
	v_fmac_f64_e32 v[124:125], s[18:19], v[96:97]
	v_add_f64 v[80:81], v[126:127], v[80:81]
	v_add_f64 v[2:3], v[2:3], v[42:43]
	;; [unrolled: 1-line block ×3, first 2 shown]
	v_mul_f64 v[170:171], v[120:121], s[34:35]
	v_fmac_f64_e32 v[164:165], s[12:13], v[94:95]
	v_add_f64 v[146:147], v[162:163], v[146:147]
	v_add_f64 v[110:111], v[110:111], v[154:155]
	v_mul_f64 v[120:121], v[120:121], s[36:37]
	v_fma_f64 v[154:155], v[94:95], s[22:23], -v[122:123]
	v_add_f64 v[156:157], v[156:157], v[158:159]
	v_fmac_f64_e32 v[122:123], s[22:23], v[94:95]
	v_add_f64 v[80:81], v[124:125], v[80:81]
	v_add_f64 v[2:3], v[2:3], v[46:47]
	;; [unrolled: 1-line block ×3, first 2 shown]
	v_mul_i32_i24_e32 v4, 0xd0, v135
	v_add_f64 v[144:145], v[144:145], v[142:143]
	v_fma_f64 v[142:143], v[92:93], s[4:5], -v[170:171]
	v_fmac_f64_e32 v[170:171], s[4:5], v[92:93]
	v_add_f64 v[146:147], v[164:165], v[146:147]
	v_add_f64 v[110:111], v[108:109], v[110:111]
	v_fma_f64 v[108:109], v[92:93], s[26:27], -v[120:121]
	v_add_f64 v[154:155], v[154:155], v[156:157]
	v_fmac_f64_e32 v[120:121], s[26:27], v[92:93]
	v_add_f64 v[80:81], v[122:123], v[80:81]
	v_add_f64 v[2:3], v[2:3], v[50:51]
	;; [unrolled: 1-line block ×3, first 2 shown]
	v_add3_u32 v4, 0, v4, v137
	v_add_f64 v[142:143], v[142:143], v[166:167]
	v_add_f64 v[146:147], v[170:171], v[146:147]
	;; [unrolled: 1-line block ×4, first 2 shown]
	ds_write_b128 v4, v[0:3]
	ds_write_b128 v4, v[80:83] offset:16
	ds_write_b128 v4, v[146:149] offset:32
	;; [unrolled: 1-line block ×12, first 2 shown]
.LBB0_15:
	s_or_b64 exec, exec, s[48:49]
	v_add_u32_e32 v121, 26, v132
	s_movk_i32 s0, 0x4f
	v_mul_lo_u16_sdwa v0, v121, s0 dst_sel:DWORD dst_unused:UNUSED_PAD src0_sel:BYTE_0 src1_sel:DWORD
	v_lshrrev_b16_e32 v0, 10, v0
	v_lshlrev_b32_e32 v84, 2, v132
	v_mov_b32_e32 v85, 0
	v_mul_lo_u16_e32 v0, 13, v0
	v_lshl_add_u64 v[86:87], v[84:85], 4, s[8:9]
	v_mov_b32_e32 v8, 6
	v_sub_u16_e32 v84, v121, v0
	v_lshlrev_b32_sdwa v9, v8, v84 dst_sel:DWORD dst_unused:UNUSED_PAD src0_sel:DWORD src1_sel:BYTE_0
	v_add_u32_e32 v123, 39, v132
	s_waitcnt lgkmcnt(0)
	; wave barrier
	s_waitcnt lgkmcnt(0)
	global_load_dwordx4 v[32:35], v[86:87], off
	global_load_dwordx4 v[28:31], v[86:87], off offset:16
	global_load_dwordx4 v[24:27], v[86:87], off offset:32
	;; [unrolled: 1-line block ×3, first 2 shown]
	global_load_dwordx4 v[36:39], v9, s[8:9] offset:16
	global_load_dwordx4 v[40:43], v9, s[8:9]
	ds_read_b128 v[44:47], v134 offset:1040
	ds_read_b128 v[48:51], v134 offset:1248
	;; [unrolled: 1-line block ×4, first 2 shown]
	ds_read_b128 v[4:7], v136
	ds_read_b128 v[0:3], v134 offset:416
	global_load_dwordx4 v[88:91], v9, s[8:9] offset:48
	global_load_dwordx4 v[72:75], v9, s[8:9] offset:32
	v_mul_lo_u16_sdwa v9, v123, s0 dst_sel:DWORD dst_unused:UNUSED_PAD src0_sel:BYTE_0 src1_sel:DWORD
	v_lshrrev_b16_e32 v9, 10, v9
	v_mul_lo_u16_e32 v9, 13, v9
	v_sub_u16_e32 v124, v123, v9
	v_lshlrev_b32_sdwa v9, v8, v124 dst_sel:DWORD dst_unused:UNUSED_PAD src0_sel:DWORD src1_sel:BYTE_0
	v_add_u32_e32 v122, 52, v132
	global_load_dwordx4 v[92:95], v9, s[8:9] offset:16
	global_load_dwordx4 v[96:99], v9, s[8:9]
	ds_read_b128 v[60:63], v134 offset:2288
	ds_read_b128 v[76:79], v134 offset:2496
	;; [unrolled: 1-line block ×6, first 2 shown]
	global_load_dwordx4 v[126:129], v9, s[8:9] offset:48
	global_load_dwordx4 v[112:115], v9, s[8:9] offset:32
	v_mul_lo_u16_sdwa v9, v122, s0 dst_sel:DWORD dst_unused:UNUSED_PAD src0_sel:BYTE_0 src1_sel:DWORD
	v_lshrrev_b16_e32 v9, 10, v9
	v_mul_lo_u16_e32 v9, 13, v9
	v_sub_u16_e32 v125, v122, v9
	v_lshlrev_b32_sdwa v17, v8, v125 dst_sel:DWORD dst_unused:UNUSED_PAD src0_sel:DWORD src1_sel:BYTE_0
	global_load_dwordx4 v[138:141], v17, s[8:9] offset:16
	global_load_dwordx4 v[142:145], v17, s[8:9]
	ds_read_b128 v[80:83], v134 offset:3536
	ds_read_b128 v[146:149], v134 offset:3744
	;; [unrolled: 1-line block ×6, first 2 shown]
	global_load_dwordx4 v[154:157], v17, s[8:9] offset:48
	global_load_dwordx4 v[158:161], v17, s[8:9] offset:32
	ds_read_b128 v[162:165], v134 offset:2704
	ds_read_b128 v[166:169], v134 offset:2912
	;; [unrolled: 1-line block ×6, first 2 shown]
	s_mov_b32 s4, 0x134454ff
	s_mov_b32 s5, 0xbfee6f0e
	s_mov_b32 s0, 0x4755a5e
	s_mov_b32 s13, 0x3fee6f0e
	s_mov_b32 s12, s4
	s_mov_b32 s1, 0xbfe2cf23
	s_mov_b32 s10, 0x372fe950
	s_mov_b32 s15, 0x3fe2cf23
	s_mov_b32 s14, s0
	s_mov_b32 s11, 0x3fd3c6ef
	v_lshlrev_b32_e32 v16, 4, v135
	v_add3_u32 v120, 0, v16, v137
	ds_read_b128 v[16:19], v120
	s_waitcnt lgkmcnt(0)
	; wave barrier
	s_waitcnt vmcnt(15) lgkmcnt(0)
	v_mul_f64 v[130:131], v[46:47], v[34:35]
	v_mul_f64 v[186:187], v[44:45], v[34:35]
	s_waitcnt vmcnt(13)
	v_mul_f64 v[192:193], v[54:55], v[26:27]
	v_fmac_f64_e32 v[130:131], v[44:45], v[32:33]
	v_fma_f64 v[44:45], v[46:47], v[32:33], -v[186:187]
	v_mul_f64 v[46:47], v[50:51], v[34:35]
	v_mul_f64 v[34:35], v[48:49], v[34:35]
	;; [unrolled: 1-line block ×3, first 2 shown]
	s_waitcnt vmcnt(12)
	v_mul_f64 v[196:197], v[172:173], v[22:23]
	v_mul_f64 v[198:199], v[170:171], v[22:23]
	v_fmac_f64_e32 v[192:193], v[52:53], v[24:25]
	v_fma_f64 v[52:53], v[50:51], v[32:33], -v[34:35]
	v_mul_f64 v[50:51], v[62:63], v[30:31]
	v_mul_f64 v[188:189], v[118:119], v[30:31]
	;; [unrolled: 1-line block ×3, first 2 shown]
	v_fmac_f64_e32 v[196:197], v[170:171], v[20:21]
	v_fma_f64 v[170:171], v[172:173], v[20:21], -v[198:199]
	v_fmac_f64_e32 v[50:51], v[60:61], v[28:29]
	v_mul_f64 v[30:31], v[60:61], v[30:31]
	v_mul_f64 v[60:61], v[58:59], v[26:27]
	;; [unrolled: 1-line block ×5, first 2 shown]
	v_fma_f64 v[186:187], v[118:119], v[28:29], -v[190:191]
	v_fma_f64 v[190:191], v[54:55], v[24:25], -v[194:195]
	;; [unrolled: 1-line block ×3, first 2 shown]
	v_fmac_f64_e32 v[60:61], v[56:57], v[24:25]
	v_fma_f64 v[56:57], v[58:59], v[24:25], -v[26:27]
	v_fmac_f64_e32 v[172:173], v[64:65], v[20:21]
	v_fma_f64 v[58:59], v[66:67], v[20:21], -v[22:23]
	s_waitcnt vmcnt(10)
	v_mul_f64 v[62:63], v[70:71], v[42:43]
	v_mul_f64 v[20:21], v[68:69], v[42:43]
	v_fmac_f64_e32 v[62:63], v[68:69], v[40:41]
	v_fma_f64 v[68:69], v[70:71], v[40:41], -v[20:21]
	v_mul_f64 v[66:67], v[78:79], v[38:39]
	v_mul_f64 v[20:21], v[76:77], v[38:39]
	v_fmac_f64_e32 v[66:67], v[76:77], v[36:37]
	v_fma_f64 v[70:71], v[78:79], v[36:37], -v[20:21]
	s_waitcnt vmcnt(8)
	v_mul_f64 v[76:77], v[82:83], v[74:75]
	v_mul_f64 v[20:21], v[80:81], v[74:75]
	v_fmac_f64_e32 v[76:77], v[80:81], v[72:73]
	v_fma_f64 v[72:73], v[82:83], v[72:73], -v[20:21]
	v_mul_f64 v[20:21], v[104:105], v[90:91]
	v_fma_f64 v[74:75], v[106:107], v[88:89], -v[20:21]
	s_waitcnt vmcnt(6)
	v_mul_f64 v[78:79], v[110:111], v[98:99]
	v_mul_f64 v[20:21], v[108:109], v[98:99]
	v_fmac_f64_e32 v[78:79], v[108:109], v[96:97]
	v_fma_f64 v[108:109], v[110:111], v[96:97], -v[20:21]
	v_mul_f64 v[20:21], v[162:163], v[94:95]
	v_fmac_f64_e32 v[188:189], v[116:117], v[28:29]
	v_fma_f64 v[110:111], v[164:165], v[92:93], -v[20:21]
	s_waitcnt vmcnt(4)
	v_mul_f64 v[116:117], v[148:149], v[114:115]
	v_mul_f64 v[20:21], v[146:147], v[114:115]
	v_fmac_f64_e32 v[116:117], v[146:147], v[112:113]
	v_fma_f64 v[112:113], v[148:149], v[112:113], -v[20:21]
	v_mul_f64 v[20:21], v[178:179], v[128:129]
	v_mul_f64 v[80:81], v[106:107], v[90:91]
	v_fma_f64 v[114:115], v[180:181], v[126:127], -v[20:21]
	s_waitcnt vmcnt(2)
	v_mul_f64 v[20:21], v[150:151], v[144:145]
	v_fmac_f64_e32 v[80:81], v[104:105], v[88:89]
	v_fma_f64 v[88:89], v[152:153], v[142:143], -v[20:21]
	v_mul_f64 v[20:21], v[166:167], v[140:141]
	v_mul_f64 v[82:83], v[164:165], v[94:95]
	v_fma_f64 v[90:91], v[168:169], v[138:139], -v[20:21]
	s_waitcnt vmcnt(0)
	v_mul_f64 v[20:21], v[174:175], v[160:161]
	v_fmac_f64_e32 v[82:83], v[162:163], v[92:93]
	v_fma_f64 v[92:93], v[176:177], v[158:159], -v[20:21]
	v_mul_f64 v[20:21], v[182:183], v[156:157]
	v_fma_f64 v[94:95], v[184:185], v[154:155], -v[20:21]
	v_add_f64 v[20:21], v[4:5], v[130:131]
	v_add_f64 v[20:21], v[20:21], v[188:189]
	;; [unrolled: 1-line block ×5, first 2 shown]
	v_fma_f64 v[20:21], -0.5, v[20:21], v[4:5]
	v_add_f64 v[22:23], v[44:45], -v[170:171]
	v_fmac_f64_e32 v[46:47], v[48:49], v[32:33]
	v_fma_f64 v[28:29], s[4:5], v[22:23], v[20:21]
	v_add_f64 v[26:27], v[186:187], -v[190:191]
	v_add_f64 v[30:31], v[130:131], -v[188:189]
	;; [unrolled: 1-line block ×3, first 2 shown]
	v_fmac_f64_e32 v[20:21], s[12:13], v[22:23]
	v_fmac_f64_e32 v[28:29], s[0:1], v[26:27]
	v_add_f64 v[30:31], v[30:31], v[32:33]
	v_fmac_f64_e32 v[20:21], s[14:15], v[26:27]
	v_fmac_f64_e32 v[28:29], s[10:11], v[30:31]
	;; [unrolled: 1-line block ×3, first 2 shown]
	v_add_f64 v[30:31], v[130:131], v[196:197]
	v_fmac_f64_e32 v[4:5], -0.5, v[30:31]
	v_fma_f64 v[32:33], s[12:13], v[26:27], v[4:5]
	v_fmac_f64_e32 v[4:5], s[4:5], v[26:27]
	v_fmac_f64_e32 v[32:33], s[0:1], v[22:23]
	;; [unrolled: 1-line block ×3, first 2 shown]
	v_add_f64 v[22:23], v[6:7], v[44:45]
	v_add_f64 v[22:23], v[22:23], v[186:187]
	;; [unrolled: 1-line block ×3, first 2 shown]
	v_add_f64 v[30:31], v[188:189], -v[130:131]
	v_add_f64 v[34:35], v[192:193], -v[196:197]
	v_add_f64 v[26:27], v[22:23], v[170:171]
	v_add_f64 v[22:23], v[186:187], v[190:191]
	;; [unrolled: 1-line block ×3, first 2 shown]
	v_fma_f64 v[22:23], -0.5, v[22:23], v[6:7]
	v_add_f64 v[36:37], v[130:131], -v[196:197]
	v_fmac_f64_e32 v[32:33], s[10:11], v[30:31]
	v_fmac_f64_e32 v[4:5], s[10:11], v[30:31]
	v_fma_f64 v[30:31], s[12:13], v[36:37], v[22:23]
	v_add_f64 v[38:39], v[188:189], -v[192:193]
	v_add_f64 v[34:35], v[44:45], -v[186:187]
	;; [unrolled: 1-line block ×3, first 2 shown]
	v_fmac_f64_e32 v[22:23], s[4:5], v[36:37]
	v_fmac_f64_e32 v[30:31], s[14:15], v[38:39]
	v_add_f64 v[34:35], v[34:35], v[40:41]
	v_fmac_f64_e32 v[22:23], s[0:1], v[38:39]
	v_fmac_f64_e32 v[30:31], s[10:11], v[34:35]
	;; [unrolled: 1-line block ×3, first 2 shown]
	v_add_f64 v[34:35], v[44:45], v[170:171]
	v_fmac_f64_e32 v[6:7], -0.5, v[34:35]
	v_fma_f64 v[34:35], s[4:5], v[38:39], v[6:7]
	v_fmac_f64_e32 v[6:7], s[12:13], v[38:39]
	v_fmac_f64_e32 v[34:35], s[14:15], v[36:37]
	;; [unrolled: 1-line block ×3, first 2 shown]
	v_add_f64 v[36:37], v[16:17], v[46:47]
	v_add_f64 v[40:41], v[186:187], -v[44:45]
	v_add_f64 v[42:43], v[190:191], -v[170:171]
	v_add_f64 v[36:37], v[36:37], v[50:51]
	v_add_f64 v[40:41], v[40:41], v[42:43]
	;; [unrolled: 1-line block ×3, first 2 shown]
	v_fmac_f64_e32 v[34:35], s[10:11], v[40:41]
	v_fmac_f64_e32 v[6:7], s[10:11], v[40:41]
	v_add_f64 v[40:41], v[36:37], v[172:173]
	v_add_f64 v[36:37], v[50:51], v[60:61]
	v_fma_f64 v[36:37], -0.5, v[36:37], v[16:17]
	v_add_f64 v[38:39], v[52:53], -v[58:59]
	v_fma_f64 v[44:45], s[4:5], v[38:39], v[36:37]
	v_add_f64 v[42:43], v[54:55], -v[56:57]
	v_add_f64 v[48:49], v[46:47], -v[50:51]
	;; [unrolled: 1-line block ×3, first 2 shown]
	v_fmac_f64_e32 v[36:37], s[12:13], v[38:39]
	v_fmac_f64_e32 v[44:45], s[0:1], v[42:43]
	v_add_f64 v[48:49], v[48:49], v[64:65]
	v_fmac_f64_e32 v[36:37], s[14:15], v[42:43]
	v_fmac_f64_e32 v[44:45], s[10:11], v[48:49]
	;; [unrolled: 1-line block ×3, first 2 shown]
	v_add_f64 v[48:49], v[46:47], v[172:173]
	v_fmac_f64_e32 v[16:17], -0.5, v[48:49]
	v_fma_f64 v[48:49], s[12:13], v[42:43], v[16:17]
	v_fmac_f64_e32 v[16:17], s[4:5], v[42:43]
	v_fmac_f64_e32 v[48:49], s[0:1], v[38:39]
	;; [unrolled: 1-line block ×3, first 2 shown]
	v_add_f64 v[38:39], v[18:19], v[52:53]
	v_mul_f64 v[118:119], v[180:181], v[128:129]
	v_add_f64 v[38:39], v[38:39], v[54:55]
	v_fmac_f64_e32 v[118:119], v[178:179], v[126:127]
	v_add_f64 v[64:65], v[50:51], -v[46:47]
	v_add_f64 v[126:127], v[60:61], -v[172:173]
	v_add_f64 v[38:39], v[38:39], v[56:57]
	v_add_f64 v[64:65], v[64:65], v[126:127]
	;; [unrolled: 1-line block ×4, first 2 shown]
	v_fmac_f64_e32 v[48:49], s[10:11], v[64:65]
	v_fmac_f64_e32 v[16:17], s[10:11], v[64:65]
	v_fma_f64 v[38:39], -0.5, v[38:39], v[18:19]
	v_add_f64 v[64:65], v[46:47], -v[172:173]
	v_fma_f64 v[46:47], s[12:13], v[64:65], v[38:39]
	v_add_f64 v[60:61], v[50:51], -v[60:61]
	v_add_f64 v[50:51], v[52:53], -v[54:55]
	;; [unrolled: 1-line block ×3, first 2 shown]
	v_fmac_f64_e32 v[38:39], s[4:5], v[64:65]
	v_fmac_f64_e32 v[46:47], s[14:15], v[60:61]
	v_add_f64 v[50:51], v[50:51], v[126:127]
	v_fmac_f64_e32 v[38:39], s[0:1], v[60:61]
	v_fmac_f64_e32 v[46:47], s[10:11], v[50:51]
	;; [unrolled: 1-line block ×3, first 2 shown]
	v_add_f64 v[50:51], v[52:53], v[58:59]
	v_fmac_f64_e32 v[18:19], -0.5, v[50:51]
	v_fma_f64 v[50:51], s[4:5], v[60:61], v[18:19]
	v_add_f64 v[52:53], v[54:55], -v[52:53]
	v_add_f64 v[54:55], v[56:57], -v[58:59]
	v_fmac_f64_e32 v[18:19], s[12:13], v[60:61]
	v_fmac_f64_e32 v[50:51], s[14:15], v[64:65]
	v_add_f64 v[52:53], v[52:53], v[54:55]
	v_fmac_f64_e32 v[18:19], s[0:1], v[64:65]
	v_fmac_f64_e32 v[50:51], s[10:11], v[52:53]
	;; [unrolled: 1-line block ×3, first 2 shown]
	v_add_f64 v[52:53], v[0:1], v[62:63]
	v_add_f64 v[52:53], v[52:53], v[66:67]
	v_add_f64 v[52:53], v[52:53], v[76:77]
	v_add_f64 v[56:57], v[52:53], v[80:81]
	v_add_f64 v[52:53], v[66:67], v[76:77]
	v_fma_f64 v[52:53], -0.5, v[52:53], v[0:1]
	v_add_f64 v[54:55], v[68:69], -v[74:75]
	v_fma_f64 v[60:61], s[4:5], v[54:55], v[52:53]
	v_add_f64 v[58:59], v[70:71], -v[72:73]
	v_add_f64 v[64:65], v[62:63], -v[66:67]
	;; [unrolled: 1-line block ×3, first 2 shown]
	v_fmac_f64_e32 v[52:53], s[12:13], v[54:55]
	v_fmac_f64_e32 v[60:61], s[0:1], v[58:59]
	v_add_f64 v[64:65], v[64:65], v[126:127]
	v_fmac_f64_e32 v[52:53], s[14:15], v[58:59]
	v_fmac_f64_e32 v[60:61], s[10:11], v[64:65]
	;; [unrolled: 1-line block ×3, first 2 shown]
	v_add_f64 v[64:65], v[62:63], v[80:81]
	v_fmac_f64_e32 v[0:1], -0.5, v[64:65]
	v_fma_f64 v[64:65], s[12:13], v[58:59], v[0:1]
	v_fmac_f64_e32 v[0:1], s[4:5], v[58:59]
	v_fmac_f64_e32 v[64:65], s[0:1], v[54:55]
	;; [unrolled: 1-line block ×3, first 2 shown]
	v_add_f64 v[54:55], v[2:3], v[68:69]
	v_add_f64 v[54:55], v[54:55], v[70:71]
	;; [unrolled: 1-line block ×3, first 2 shown]
	v_add_f64 v[126:127], v[66:67], -v[62:63]
	v_add_f64 v[128:129], v[76:77], -v[80:81]
	v_add_f64 v[58:59], v[54:55], v[74:75]
	v_add_f64 v[54:55], v[70:71], v[72:73]
	;; [unrolled: 1-line block ×3, first 2 shown]
	v_fma_f64 v[54:55], -0.5, v[54:55], v[2:3]
	v_add_f64 v[80:81], v[62:63], -v[80:81]
	v_fmac_f64_e32 v[64:65], s[10:11], v[126:127]
	v_fmac_f64_e32 v[0:1], s[10:11], v[126:127]
	v_fma_f64 v[62:63], s[12:13], v[80:81], v[54:55]
	v_add_f64 v[76:77], v[66:67], -v[76:77]
	v_add_f64 v[66:67], v[68:69], -v[70:71]
	v_add_f64 v[126:127], v[74:75], -v[72:73]
	v_fmac_f64_e32 v[54:55], s[4:5], v[80:81]
	v_fmac_f64_e32 v[62:63], s[14:15], v[76:77]
	v_add_f64 v[66:67], v[66:67], v[126:127]
	v_fmac_f64_e32 v[54:55], s[0:1], v[76:77]
	v_fmac_f64_e32 v[62:63], s[10:11], v[66:67]
	;; [unrolled: 1-line block ×3, first 2 shown]
	v_add_f64 v[66:67], v[68:69], v[74:75]
	v_fmac_f64_e32 v[2:3], -0.5, v[66:67]
	v_fma_f64 v[66:67], s[4:5], v[76:77], v[2:3]
	v_add_f64 v[68:69], v[70:71], -v[68:69]
	v_add_f64 v[70:71], v[72:73], -v[74:75]
	v_fmac_f64_e32 v[2:3], s[12:13], v[76:77]
	v_fmac_f64_e32 v[66:67], s[14:15], v[80:81]
	v_add_f64 v[68:69], v[68:69], v[70:71]
	v_fmac_f64_e32 v[2:3], s[0:1], v[80:81]
	v_fmac_f64_e32 v[66:67], s[10:11], v[68:69]
	;; [unrolled: 1-line block ×3, first 2 shown]
	v_add_f64 v[68:69], v[12:13], v[78:79]
	v_add_f64 v[68:69], v[68:69], v[82:83]
	v_add_f64 v[68:69], v[68:69], v[116:117]
	v_add_f64 v[72:73], v[68:69], v[118:119]
	v_add_f64 v[68:69], v[82:83], v[116:117]
	v_fma_f64 v[68:69], -0.5, v[68:69], v[12:13]
	v_add_f64 v[70:71], v[108:109], -v[114:115]
	v_fma_f64 v[76:77], s[4:5], v[70:71], v[68:69]
	v_add_f64 v[74:75], v[110:111], -v[112:113]
	v_add_f64 v[80:81], v[78:79], -v[82:83]
	;; [unrolled: 1-line block ×3, first 2 shown]
	v_fmac_f64_e32 v[68:69], s[12:13], v[70:71]
	v_fmac_f64_e32 v[76:77], s[0:1], v[74:75]
	v_add_f64 v[80:81], v[80:81], v[126:127]
	v_fmac_f64_e32 v[68:69], s[14:15], v[74:75]
	v_fmac_f64_e32 v[76:77], s[10:11], v[80:81]
	;; [unrolled: 1-line block ×3, first 2 shown]
	v_add_f64 v[80:81], v[78:79], v[118:119]
	v_fmac_f64_e32 v[12:13], -0.5, v[80:81]
	v_fma_f64 v[80:81], s[12:13], v[74:75], v[12:13]
	v_fmac_f64_e32 v[12:13], s[4:5], v[74:75]
	v_fmac_f64_e32 v[80:81], s[0:1], v[70:71]
	v_fmac_f64_e32 v[12:13], s[14:15], v[70:71]
	v_add_f64 v[70:71], v[14:15], v[108:109]
	v_add_f64 v[70:71], v[70:71], v[110:111]
	;; [unrolled: 1-line block ×3, first 2 shown]
	v_add_f64 v[126:127], v[82:83], -v[78:79]
	v_add_f64 v[128:129], v[116:117], -v[118:119]
	v_add_f64 v[74:75], v[70:71], v[114:115]
	v_add_f64 v[70:71], v[110:111], v[112:113]
	;; [unrolled: 1-line block ×3, first 2 shown]
	v_fma_f64 v[70:71], -0.5, v[70:71], v[14:15]
	v_add_f64 v[118:119], v[78:79], -v[118:119]
	v_fmac_f64_e32 v[80:81], s[10:11], v[126:127]
	v_fmac_f64_e32 v[12:13], s[10:11], v[126:127]
	v_fma_f64 v[78:79], s[12:13], v[118:119], v[70:71]
	v_add_f64 v[116:117], v[82:83], -v[116:117]
	v_add_f64 v[82:83], v[108:109], -v[110:111]
	;; [unrolled: 1-line block ×3, first 2 shown]
	v_fmac_f64_e32 v[70:71], s[4:5], v[118:119]
	v_mul_f64 v[98:99], v[168:169], v[140:141]
	v_mul_f64 v[104:105], v[176:177], v[160:161]
	v_fmac_f64_e32 v[78:79], s[14:15], v[116:117]
	v_add_f64 v[82:83], v[82:83], v[126:127]
	v_fmac_f64_e32 v[70:71], s[0:1], v[116:117]
	v_fmac_f64_e32 v[98:99], v[166:167], v[138:139]
	;; [unrolled: 1-line block ×5, first 2 shown]
	v_add_f64 v[82:83], v[108:109], v[114:115]
	v_add_f64 v[108:109], v[110:111], -v[108:109]
	v_add_f64 v[110:111], v[112:113], -v[114:115]
	v_mul_f64 v[96:97], v[152:153], v[144:145]
	v_mul_f64 v[106:107], v[184:185], v[156:157]
	v_fmac_f64_e32 v[14:15], -0.5, v[82:83]
	v_add_f64 v[108:109], v[108:109], v[110:111]
	v_add_f64 v[110:111], v[98:99], v[104:105]
	v_fmac_f64_e32 v[96:97], v[150:151], v[142:143]
	v_fmac_f64_e32 v[106:107], v[182:183], v[154:155]
	v_fma_f64 v[82:83], s[4:5], v[116:117], v[14:15]
	v_fmac_f64_e32 v[14:15], s[12:13], v[116:117]
	v_fma_f64 v[112:113], -0.5, v[110:111], v[8:9]
	v_add_f64 v[110:111], v[88:89], -v[94:95]
	v_fmac_f64_e32 v[82:83], s[14:15], v[118:119]
	v_fmac_f64_e32 v[14:15], s[0:1], v[118:119]
	v_fma_f64 v[116:117], s[4:5], v[110:111], v[112:113]
	v_add_f64 v[114:115], v[90:91], -v[92:93]
	v_add_f64 v[118:119], v[96:97], -v[98:99]
	v_add_f64 v[126:127], v[106:107], -v[104:105]
	v_fmac_f64_e32 v[112:113], s[12:13], v[110:111]
	v_fmac_f64_e32 v[116:117], s[0:1], v[114:115]
	v_add_f64 v[118:119], v[118:119], v[126:127]
	v_fmac_f64_e32 v[112:113], s[14:15], v[114:115]
	v_fmac_f64_e32 v[116:117], s[10:11], v[118:119]
	;; [unrolled: 1-line block ×3, first 2 shown]
	v_add_f64 v[118:119], v[96:97], v[106:107]
	v_fmac_f64_e32 v[82:83], s[10:11], v[108:109]
	v_fmac_f64_e32 v[14:15], s[10:11], v[108:109]
	v_add_f64 v[108:109], v[8:9], v[96:97]
	v_fmac_f64_e32 v[8:9], -0.5, v[118:119]
	v_add_f64 v[108:109], v[108:109], v[98:99]
	v_fma_f64 v[126:127], s[12:13], v[114:115], v[8:9]
	v_add_f64 v[118:119], v[98:99], -v[96:97]
	v_add_f64 v[128:129], v[104:105], -v[106:107]
	v_fmac_f64_e32 v[8:9], s[4:5], v[114:115]
	v_add_f64 v[114:115], v[90:91], v[92:93]
	v_add_f64 v[108:109], v[108:109], v[104:105]
	v_fmac_f64_e32 v[126:127], s[0:1], v[110:111]
	v_add_f64 v[118:119], v[118:119], v[128:129]
	v_fmac_f64_e32 v[8:9], s[14:15], v[110:111]
	v_fma_f64 v[114:115], -0.5, v[114:115], v[10:11]
	v_add_f64 v[96:97], v[96:97], -v[106:107]
	ds_write_b128 v134, v[24:27]
	ds_write_b128 v134, v[28:31] offset:208
	ds_write_b128 v134, v[32:35] offset:416
	;; [unrolled: 1-line block ×9, first 2 shown]
	v_mov_b32_e32 v4, 4
	v_add_f64 v[108:109], v[108:109], v[106:107]
	v_fmac_f64_e32 v[126:127], s[10:11], v[118:119]
	v_fmac_f64_e32 v[8:9], s[10:11], v[118:119]
	v_fma_f64 v[118:119], s[12:13], v[96:97], v[114:115]
	v_add_f64 v[98:99], v[98:99], -v[104:105]
	v_add_f64 v[104:105], v[88:89], -v[90:91]
	;; [unrolled: 1-line block ×3, first 2 shown]
	v_fmac_f64_e32 v[114:115], s[4:5], v[96:97]
	v_lshlrev_b32_sdwa v5, v4, v84 dst_sel:DWORD dst_unused:UNUSED_PAD src0_sel:DWORD src1_sel:BYTE_0
	v_fmac_f64_e32 v[118:119], s[14:15], v[98:99]
	v_add_f64 v[104:105], v[104:105], v[106:107]
	v_fmac_f64_e32 v[114:115], s[0:1], v[98:99]
	v_add3_u32 v5, 0, v5, v137
	v_add_f64 v[110:111], v[10:11], v[88:89]
	v_fmac_f64_e32 v[118:119], s[10:11], v[104:105]
	v_fmac_f64_e32 v[114:115], s[10:11], v[104:105]
	v_add_f64 v[104:105], v[88:89], v[94:95]
	ds_write_b128 v5, v[56:59] offset:2080
	ds_write_b128 v5, v[60:63] offset:2288
	;; [unrolled: 1-line block ×5, first 2 shown]
	v_lshlrev_b32_sdwa v0, v4, v124 dst_sel:DWORD dst_unused:UNUSED_PAD src0_sel:DWORD src1_sel:BYTE_0
	v_add_f64 v[110:111], v[110:111], v[90:91]
	v_fmac_f64_e32 v[10:11], -0.5, v[104:105]
	v_add3_u32 v0, 0, v0, v137
	v_add_f64 v[110:111], v[110:111], v[92:93]
	v_fma_f64 v[128:129], s[4:5], v[98:99], v[10:11]
	v_add_f64 v[88:89], v[90:91], -v[88:89]
	v_add_f64 v[90:91], v[92:93], -v[94:95]
	v_fmac_f64_e32 v[10:11], s[12:13], v[98:99]
	ds_write_b128 v0, v[72:75] offset:3120
	ds_write_b128 v0, v[76:79] offset:3328
	;; [unrolled: 1-line block ×5, first 2 shown]
	v_lshlrev_b32_sdwa v0, v4, v125 dst_sel:DWORD dst_unused:UNUSED_PAD src0_sel:DWORD src1_sel:BYTE_0
	v_add_f64 v[110:111], v[110:111], v[94:95]
	v_fmac_f64_e32 v[128:129], s[14:15], v[96:97]
	v_add_f64 v[88:89], v[88:89], v[90:91]
	v_fmac_f64_e32 v[10:11], s[0:1], v[96:97]
	v_add3_u32 v0, 0, v0, v137
	v_fmac_f64_e32 v[128:129], s[10:11], v[88:89]
	v_fmac_f64_e32 v[10:11], s[10:11], v[88:89]
	ds_write_b128 v0, v[108:111] offset:4160
	ds_write_b128 v0, v[116:119] offset:4368
	;; [unrolled: 1-line block ×5, first 2 shown]
	s_waitcnt lgkmcnt(0)
	; wave barrier
	s_waitcnt lgkmcnt(0)
	global_load_dwordx4 v[32:35], v[86:87], off offset:832
	global_load_dwordx4 v[28:31], v[86:87], off offset:848
	;; [unrolled: 1-line block ×4, first 2 shown]
	v_lshlrev_b32_e32 v84, 2, v135
	v_lshl_add_u64 v[0:1], v[84:85], 4, s[8:9]
	global_load_dwordx4 v[36:39], v[0:1], off offset:832
	global_load_dwordx4 v[40:43], v[0:1], off offset:848
	;; [unrolled: 1-line block ×4, first 2 shown]
	v_lshlrev_b32_e32 v84, 2, v121
	v_lshl_add_u64 v[0:1], v[84:85], 4, s[8:9]
	v_lshlrev_b32_e32 v84, 2, v123
	global_load_dwordx4 v[58:61], v[0:1], off offset:832
	global_load_dwordx4 v[70:73], v[0:1], off offset:848
	;; [unrolled: 1-line block ×4, first 2 shown]
	v_lshl_add_u64 v[8:9], v[84:85], 4, s[8:9]
	ds_read_b128 v[0:3], v120
	global_load_dwordx4 v[90:93], v[8:9], off offset:848
	global_load_dwordx4 v[94:97], v[8:9], off offset:832
	ds_read_b128 v[52:55], v134 offset:1040
	ds_read_b128 v[62:65], v134 offset:1248
	;; [unrolled: 1-line block ×4, first 2 shown]
	ds_read_b128 v[16:19], v136
	ds_read_b128 v[4:7], v134 offset:416
	global_load_dwordx4 v[116:119], v[8:9], off offset:880
	global_load_dwordx4 v[108:111], v[8:9], off offset:864
	v_lshlrev_b32_e32 v84, 2, v122
	v_lshl_add_u64 v[56:57], v[84:85], 4, s[8:9]
	ds_read_b128 v[104:107], v134 offset:2288
	ds_read_b128 v[112:115], v134 offset:2496
	;; [unrolled: 1-line block ×4, first 2 shown]
	global_load_dwordx4 v[136:139], v[56:57], off offset:848
	global_load_dwordx4 v[140:143], v[56:57], off offset:832
	ds_read_b128 v[82:85], v134 offset:1456
	ds_read_b128 v[144:147], v134 offset:1664
	;; [unrolled: 1-line block ×6, first 2 shown]
	global_load_dwordx4 v[156:159], v[56:57], off offset:880
	global_load_dwordx4 v[160:163], v[56:57], off offset:864
	ds_read_b128 v[164:167], v134 offset:2080
	ds_read_b128 v[168:171], v134 offset:1872
	;; [unrolled: 1-line block ×8, first 2 shown]
	s_waitcnt lgkmcnt(0)
	; wave barrier
	s_waitcnt vmcnt(19) lgkmcnt(0)
	v_mul_f64 v[122:123], v[54:55], v[34:35]
	v_mul_f64 v[34:35], v[52:53], v[34:35]
	v_fma_f64 v[196:197], v[54:55], v[32:33], -v[34:35]
	s_waitcnt vmcnt(18)
	v_mul_f64 v[34:35], v[166:167], v[30:31]
	v_mul_f64 v[30:31], v[164:165], v[30:31]
	v_fmac_f64_e32 v[34:35], v[164:165], v[28:29]
	v_fma_f64 v[164:165], v[166:167], v[28:29], -v[30:31]
	s_waitcnt vmcnt(16)
	v_mul_f64 v[30:31], v[182:183], v[22:23]
	v_mul_f64 v[22:23], v[180:181], v[22:23]
	v_fmac_f64_e32 v[30:31], v[180:181], v[20:21]
	v_fma_f64 v[180:181], v[182:183], v[20:21], -v[22:23]
	s_waitcnt vmcnt(15)
	v_mul_f64 v[20:21], v[62:63], v[38:39]
	v_fmac_f64_e32 v[122:123], v[52:53], v[32:33]
	v_fma_f64 v[52:53], v[64:65], v[36:37], -v[20:21]
	s_waitcnt vmcnt(14)
	v_mul_f64 v[20:21], v[104:105], v[42:43]
	v_fma_f64 v[54:55], v[106:107], v[40:41], -v[20:21]
	s_waitcnt vmcnt(13)
	v_mul_f64 v[20:21], v[74:75], v[46:47]
	v_mul_f64 v[200:201], v[76:77], v[46:47]
	v_fma_f64 v[56:57], v[76:77], v[44:45], -v[20:21]
	s_waitcnt vmcnt(12)
	v_mul_f64 v[46:47], v[126:127], v[50:51]
	v_mul_f64 v[20:21], v[124:125], v[50:51]
	;; [unrolled: 1-line block ×4, first 2 shown]
	v_fmac_f64_e32 v[46:47], v[124:125], v[48:49]
	v_fma_f64 v[124:125], v[126:127], v[48:49], -v[20:21]
	s_waitcnt vmcnt(11)
	v_mul_f64 v[20:21], v[82:83], v[60:61]
	v_fmac_f64_e32 v[166:167], v[66:67], v[24:25]
	v_fma_f64 v[198:199], v[68:69], v[24:25], -v[26:27]
	v_fma_f64 v[68:69], v[84:85], v[58:59], -v[20:21]
	s_waitcnt vmcnt(10)
	v_mul_f64 v[66:67], v[114:115], v[72:73]
	v_mul_f64 v[20:21], v[112:113], v[72:73]
	v_fmac_f64_e32 v[66:67], v[112:113], v[70:71]
	v_fma_f64 v[70:71], v[114:115], v[70:71], -v[20:21]
	s_waitcnt vmcnt(9)
	v_mul_f64 v[20:21], v[148:149], v[80:81]
	v_fma_f64 v[72:73], v[150:151], v[78:79], -v[20:21]
	s_waitcnt vmcnt(8)
	v_mul_f64 v[20:21], v[128:129], v[88:89]
	v_mul_f64 v[182:183], v[64:65], v[38:39]
	;; [unrolled: 1-line block ×3, first 2 shown]
	v_fmac_f64_e32 v[200:201], v[74:75], v[44:45]
	v_fma_f64 v[74:75], v[130:131], v[86:87], -v[20:21]
	s_waitcnt vmcnt(6)
	v_mul_f64 v[20:21], v[144:145], v[96:97]
	v_fmac_f64_e32 v[64:65], v[104:105], v[40:41]
	v_fma_f64 v[104:105], v[146:147], v[94:95], -v[20:21]
	v_mul_f64 v[20:21], v[172:173], v[92:93]
	v_fma_f64 v[106:107], v[174:175], v[90:91], -v[20:21]
	s_waitcnt vmcnt(4)
	v_mul_f64 v[112:113], v[154:155], v[110:111]
	v_mul_f64 v[20:21], v[152:153], v[110:111]
	v_fmac_f64_e32 v[112:113], v[152:153], v[108:109]
	v_fma_f64 v[108:109], v[154:155], v[108:109], -v[20:21]
	v_mul_f64 v[20:21], v[188:189], v[118:119]
	v_fma_f64 v[110:111], v[190:191], v[116:117], -v[20:21]
	s_waitcnt vmcnt(2)
	v_mul_f64 v[20:21], v[168:169], v[142:143]
	v_fmac_f64_e32 v[182:183], v[62:63], v[36:37]
	v_mul_f64 v[62:63], v[84:85], v[60:61]
	v_mul_f64 v[76:77], v[150:151], v[80:81]
	;; [unrolled: 1-line block ×3, first 2 shown]
	v_fma_f64 v[84:85], v[170:171], v[140:141], -v[20:21]
	v_mul_f64 v[20:21], v[176:177], v[138:139]
	v_fmac_f64_e32 v[80:81], v[128:129], v[86:87]
	v_fma_f64 v[86:87], v[178:179], v[136:137], -v[20:21]
	s_waitcnt vmcnt(0)
	v_mul_f64 v[20:21], v[184:185], v[162:163]
	v_fmac_f64_e32 v[62:63], v[82:83], v[58:59]
	v_mul_f64 v[82:83], v[174:175], v[92:93]
	v_fma_f64 v[88:89], v[186:187], v[160:161], -v[20:21]
	v_mul_f64 v[20:21], v[192:193], v[158:159]
	v_fmac_f64_e32 v[82:83], v[172:173], v[90:91]
	v_fma_f64 v[90:91], v[194:195], v[156:157], -v[20:21]
	v_add_f64 v[20:21], v[16:17], v[122:123]
	v_add_f64 v[20:21], v[20:21], v[34:35]
	;; [unrolled: 1-line block ×5, first 2 shown]
	v_fma_f64 v[20:21], -0.5, v[20:21], v[16:17]
	v_add_f64 v[22:23], v[196:197], -v[180:181]
	v_fma_f64 v[28:29], s[4:5], v[22:23], v[20:21]
	v_add_f64 v[26:27], v[164:165], -v[198:199]
	v_add_f64 v[32:33], v[122:123], -v[34:35]
	;; [unrolled: 1-line block ×3, first 2 shown]
	v_fmac_f64_e32 v[20:21], s[12:13], v[22:23]
	v_fmac_f64_e32 v[28:29], s[0:1], v[26:27]
	v_add_f64 v[32:33], v[32:33], v[36:37]
	v_fmac_f64_e32 v[20:21], s[14:15], v[26:27]
	v_fmac_f64_e32 v[28:29], s[10:11], v[32:33]
	;; [unrolled: 1-line block ×3, first 2 shown]
	v_add_f64 v[32:33], v[122:123], v[30:31]
	v_fmac_f64_e32 v[16:17], -0.5, v[32:33]
	v_fma_f64 v[32:33], s[12:13], v[26:27], v[16:17]
	v_fmac_f64_e32 v[16:17], s[4:5], v[26:27]
	v_fmac_f64_e32 v[32:33], s[0:1], v[22:23]
	;; [unrolled: 1-line block ×3, first 2 shown]
	v_add_f64 v[22:23], v[18:19], v[196:197]
	v_add_f64 v[22:23], v[22:23], v[164:165]
	v_add_f64 v[36:37], v[34:35], -v[122:123]
	v_add_f64 v[38:39], v[166:167], -v[30:31]
	v_add_f64 v[22:23], v[22:23], v[198:199]
	v_add_f64 v[36:37], v[36:37], v[38:39]
	;; [unrolled: 1-line block ×4, first 2 shown]
	v_fmac_f64_e32 v[32:33], s[10:11], v[36:37]
	v_fmac_f64_e32 v[16:17], s[10:11], v[36:37]
	v_fma_f64 v[22:23], -0.5, v[22:23], v[18:19]
	v_add_f64 v[36:37], v[122:123], -v[30:31]
	v_fma_f64 v[30:31], s[12:13], v[36:37], v[22:23]
	v_add_f64 v[38:39], v[34:35], -v[166:167]
	v_add_f64 v[34:35], v[196:197], -v[164:165]
	;; [unrolled: 1-line block ×3, first 2 shown]
	v_fmac_f64_e32 v[22:23], s[4:5], v[36:37]
	v_fmac_f64_e32 v[30:31], s[14:15], v[38:39]
	v_add_f64 v[34:35], v[34:35], v[40:41]
	v_fmac_f64_e32 v[22:23], s[0:1], v[38:39]
	v_fmac_f64_e32 v[30:31], s[10:11], v[34:35]
	;; [unrolled: 1-line block ×3, first 2 shown]
	v_add_f64 v[34:35], v[196:197], v[180:181]
	v_fmac_f64_e32 v[18:19], -0.5, v[34:35]
	v_fma_f64 v[34:35], s[4:5], v[38:39], v[18:19]
	v_fmac_f64_e32 v[18:19], s[12:13], v[38:39]
	v_fmac_f64_e32 v[34:35], s[14:15], v[36:37]
	;; [unrolled: 1-line block ×3, first 2 shown]
	v_add_f64 v[36:37], v[0:1], v[182:183]
	v_add_f64 v[40:41], v[164:165], -v[196:197]
	v_add_f64 v[42:43], v[198:199], -v[180:181]
	v_add_f64 v[36:37], v[36:37], v[64:65]
	v_add_f64 v[40:41], v[40:41], v[42:43]
	;; [unrolled: 1-line block ×3, first 2 shown]
	v_fmac_f64_e32 v[34:35], s[10:11], v[40:41]
	v_fmac_f64_e32 v[18:19], s[10:11], v[40:41]
	v_add_f64 v[40:41], v[36:37], v[46:47]
	v_add_f64 v[36:37], v[64:65], v[200:201]
	v_fma_f64 v[36:37], -0.5, v[36:37], v[0:1]
	v_add_f64 v[38:39], v[52:53], -v[124:125]
	v_fma_f64 v[44:45], s[4:5], v[38:39], v[36:37]
	v_add_f64 v[42:43], v[54:55], -v[56:57]
	v_add_f64 v[48:49], v[182:183], -v[64:65]
	;; [unrolled: 1-line block ×3, first 2 shown]
	v_fmac_f64_e32 v[36:37], s[12:13], v[38:39]
	v_fmac_f64_e32 v[44:45], s[0:1], v[42:43]
	v_add_f64 v[48:49], v[48:49], v[50:51]
	v_fmac_f64_e32 v[36:37], s[14:15], v[42:43]
	v_fmac_f64_e32 v[44:45], s[10:11], v[48:49]
	;; [unrolled: 1-line block ×3, first 2 shown]
	v_add_f64 v[48:49], v[182:183], v[46:47]
	v_fmac_f64_e32 v[0:1], -0.5, v[48:49]
	v_fma_f64 v[48:49], s[12:13], v[42:43], v[0:1]
	v_fmac_f64_e32 v[0:1], s[4:5], v[42:43]
	v_fmac_f64_e32 v[48:49], s[0:1], v[38:39]
	;; [unrolled: 1-line block ×3, first 2 shown]
	v_add_f64 v[38:39], v[2:3], v[52:53]
	v_add_f64 v[38:39], v[38:39], v[54:55]
	;; [unrolled: 1-line block ×3, first 2 shown]
	v_add_f64 v[50:51], v[64:65], -v[182:183]
	v_add_f64 v[58:59], v[200:201], -v[46:47]
	v_add_f64 v[42:43], v[38:39], v[124:125]
	v_add_f64 v[38:39], v[54:55], v[56:57]
	;; [unrolled: 1-line block ×3, first 2 shown]
	v_fma_f64 v[38:39], -0.5, v[38:39], v[2:3]
	v_add_f64 v[58:59], v[182:183], -v[46:47]
	v_fmac_f64_e32 v[48:49], s[10:11], v[50:51]
	v_fmac_f64_e32 v[0:1], s[10:11], v[50:51]
	v_fma_f64 v[46:47], s[12:13], v[58:59], v[38:39]
	v_add_f64 v[60:61], v[64:65], -v[200:201]
	v_add_f64 v[50:51], v[52:53], -v[54:55]
	;; [unrolled: 1-line block ×3, first 2 shown]
	v_fmac_f64_e32 v[38:39], s[4:5], v[58:59]
	v_fmac_f64_e32 v[46:47], s[14:15], v[60:61]
	v_add_f64 v[50:51], v[50:51], v[64:65]
	v_fmac_f64_e32 v[38:39], s[0:1], v[60:61]
	v_fmac_f64_e32 v[46:47], s[10:11], v[50:51]
	;; [unrolled: 1-line block ×3, first 2 shown]
	v_add_f64 v[50:51], v[52:53], v[124:125]
	v_fmac_f64_e32 v[2:3], -0.5, v[50:51]
	v_fma_f64 v[50:51], s[4:5], v[60:61], v[2:3]
	v_add_f64 v[52:53], v[54:55], -v[52:53]
	v_add_f64 v[54:55], v[56:57], -v[124:125]
	v_fmac_f64_e32 v[2:3], s[12:13], v[60:61]
	v_fmac_f64_e32 v[50:51], s[14:15], v[58:59]
	v_add_f64 v[52:53], v[52:53], v[54:55]
	v_fmac_f64_e32 v[2:3], s[0:1], v[58:59]
	v_fmac_f64_e32 v[50:51], s[10:11], v[52:53]
	;; [unrolled: 1-line block ×3, first 2 shown]
	v_add_f64 v[52:53], v[4:5], v[62:63]
	v_fmac_f64_e32 v[76:77], v[148:149], v[78:79]
	v_add_f64 v[52:53], v[52:53], v[66:67]
	v_add_f64 v[52:53], v[52:53], v[76:77]
	;; [unrolled: 1-line block ×4, first 2 shown]
	v_mul_f64 v[114:115], v[190:191], v[118:119]
	v_fma_f64 v[52:53], -0.5, v[52:53], v[4:5]
	v_add_f64 v[54:55], v[68:69], -v[74:75]
	v_fmac_f64_e32 v[114:115], v[188:189], v[116:117]
	v_fma_f64 v[60:61], s[4:5], v[54:55], v[52:53]
	v_add_f64 v[58:59], v[70:71], -v[72:73]
	v_add_f64 v[64:65], v[62:63], -v[66:67]
	;; [unrolled: 1-line block ×3, first 2 shown]
	v_fmac_f64_e32 v[52:53], s[12:13], v[54:55]
	v_fmac_f64_e32 v[60:61], s[0:1], v[58:59]
	v_add_f64 v[64:65], v[64:65], v[116:117]
	v_fmac_f64_e32 v[52:53], s[14:15], v[58:59]
	v_fmac_f64_e32 v[60:61], s[10:11], v[64:65]
	;; [unrolled: 1-line block ×3, first 2 shown]
	v_add_f64 v[64:65], v[62:63], v[80:81]
	v_fmac_f64_e32 v[4:5], -0.5, v[64:65]
	v_fma_f64 v[64:65], s[12:13], v[58:59], v[4:5]
	v_fmac_f64_e32 v[4:5], s[4:5], v[58:59]
	v_fmac_f64_e32 v[64:65], s[0:1], v[54:55]
	;; [unrolled: 1-line block ×3, first 2 shown]
	v_add_f64 v[54:55], v[6:7], v[68:69]
	v_add_f64 v[54:55], v[54:55], v[70:71]
	;; [unrolled: 1-line block ×3, first 2 shown]
	v_add_f64 v[116:117], v[66:67], -v[62:63]
	v_add_f64 v[118:119], v[76:77], -v[80:81]
	v_add_f64 v[58:59], v[54:55], v[74:75]
	v_add_f64 v[54:55], v[70:71], v[72:73]
	;; [unrolled: 1-line block ×3, first 2 shown]
	v_fma_f64 v[54:55], -0.5, v[54:55], v[6:7]
	v_add_f64 v[80:81], v[62:63], -v[80:81]
	v_fmac_f64_e32 v[64:65], s[10:11], v[116:117]
	v_fmac_f64_e32 v[4:5], s[10:11], v[116:117]
	v_fma_f64 v[62:63], s[12:13], v[80:81], v[54:55]
	v_add_f64 v[76:77], v[66:67], -v[76:77]
	v_add_f64 v[66:67], v[68:69], -v[70:71]
	;; [unrolled: 1-line block ×3, first 2 shown]
	v_fmac_f64_e32 v[54:55], s[4:5], v[80:81]
	v_fmac_f64_e32 v[62:63], s[14:15], v[76:77]
	v_add_f64 v[66:67], v[66:67], v[116:117]
	v_fmac_f64_e32 v[54:55], s[0:1], v[76:77]
	v_fmac_f64_e32 v[62:63], s[10:11], v[66:67]
	;; [unrolled: 1-line block ×3, first 2 shown]
	v_add_f64 v[66:67], v[68:69], v[74:75]
	v_fmac_f64_e32 v[6:7], -0.5, v[66:67]
	v_mul_f64 v[78:79], v[146:147], v[96:97]
	v_fma_f64 v[66:67], s[4:5], v[76:77], v[6:7]
	v_add_f64 v[68:69], v[70:71], -v[68:69]
	v_add_f64 v[70:71], v[72:73], -v[74:75]
	v_fmac_f64_e32 v[6:7], s[12:13], v[76:77]
	v_fmac_f64_e32 v[78:79], v[144:145], v[94:95]
	v_fmac_f64_e32 v[66:67], s[14:15], v[80:81]
	v_add_f64 v[68:69], v[68:69], v[70:71]
	v_fmac_f64_e32 v[6:7], s[0:1], v[80:81]
	v_fmac_f64_e32 v[66:67], s[10:11], v[68:69]
	;; [unrolled: 1-line block ×3, first 2 shown]
	v_add_f64 v[68:69], v[12:13], v[78:79]
	v_add_f64 v[68:69], v[68:69], v[82:83]
	;; [unrolled: 1-line block ×5, first 2 shown]
	v_fma_f64 v[68:69], -0.5, v[68:69], v[12:13]
	v_add_f64 v[70:71], v[104:105], -v[110:111]
	v_fma_f64 v[76:77], s[4:5], v[70:71], v[68:69]
	v_add_f64 v[74:75], v[106:107], -v[108:109]
	v_add_f64 v[80:81], v[78:79], -v[82:83]
	;; [unrolled: 1-line block ×3, first 2 shown]
	v_fmac_f64_e32 v[68:69], s[12:13], v[70:71]
	v_fmac_f64_e32 v[76:77], s[0:1], v[74:75]
	v_add_f64 v[80:81], v[80:81], v[116:117]
	v_fmac_f64_e32 v[68:69], s[14:15], v[74:75]
	v_fmac_f64_e32 v[76:77], s[10:11], v[80:81]
	;; [unrolled: 1-line block ×3, first 2 shown]
	v_add_f64 v[80:81], v[78:79], v[114:115]
	v_fmac_f64_e32 v[12:13], -0.5, v[80:81]
	v_fma_f64 v[80:81], s[12:13], v[74:75], v[12:13]
	v_fmac_f64_e32 v[12:13], s[4:5], v[74:75]
	v_fmac_f64_e32 v[80:81], s[0:1], v[70:71]
	;; [unrolled: 1-line block ×3, first 2 shown]
	v_add_f64 v[70:71], v[14:15], v[104:105]
	v_add_f64 v[70:71], v[70:71], v[106:107]
	;; [unrolled: 1-line block ×3, first 2 shown]
	v_add_f64 v[116:117], v[82:83], -v[78:79]
	v_add_f64 v[118:119], v[112:113], -v[114:115]
	v_add_f64 v[74:75], v[70:71], v[110:111]
	v_add_f64 v[70:71], v[106:107], v[108:109]
	;; [unrolled: 1-line block ×3, first 2 shown]
	v_fma_f64 v[70:71], -0.5, v[70:71], v[14:15]
	v_add_f64 v[114:115], v[78:79], -v[114:115]
	v_fmac_f64_e32 v[80:81], s[10:11], v[116:117]
	v_fmac_f64_e32 v[12:13], s[10:11], v[116:117]
	v_fma_f64 v[78:79], s[12:13], v[114:115], v[70:71]
	v_add_f64 v[112:113], v[82:83], -v[112:113]
	v_add_f64 v[82:83], v[104:105], -v[106:107]
	;; [unrolled: 1-line block ×3, first 2 shown]
	v_fmac_f64_e32 v[70:71], s[4:5], v[114:115]
	v_mul_f64 v[94:95], v[178:179], v[138:139]
	v_mul_f64 v[96:97], v[186:187], v[162:163]
	v_fmac_f64_e32 v[78:79], s[14:15], v[112:113]
	v_add_f64 v[82:83], v[82:83], v[116:117]
	v_fmac_f64_e32 v[70:71], s[0:1], v[112:113]
	v_fmac_f64_e32 v[94:95], v[176:177], v[136:137]
	;; [unrolled: 1-line block ×5, first 2 shown]
	v_add_f64 v[82:83], v[104:105], v[110:111]
	v_add_f64 v[104:105], v[106:107], -v[104:105]
	v_add_f64 v[106:107], v[108:109], -v[110:111]
	v_mul_f64 v[92:93], v[170:171], v[142:143]
	v_mul_f64 v[98:99], v[194:195], v[158:159]
	v_fmac_f64_e32 v[14:15], -0.5, v[82:83]
	v_add_f64 v[104:105], v[104:105], v[106:107]
	v_add_f64 v[106:107], v[94:95], v[96:97]
	v_fmac_f64_e32 v[92:93], v[168:169], v[140:141]
	v_fmac_f64_e32 v[98:99], v[192:193], v[156:157]
	v_fma_f64 v[82:83], s[4:5], v[112:113], v[14:15]
	v_fmac_f64_e32 v[14:15], s[12:13], v[112:113]
	v_fma_f64 v[108:109], -0.5, v[106:107], v[8:9]
	v_add_f64 v[106:107], v[84:85], -v[90:91]
	v_fmac_f64_e32 v[82:83], s[14:15], v[114:115]
	v_fmac_f64_e32 v[14:15], s[0:1], v[114:115]
	v_fma_f64 v[112:113], s[4:5], v[106:107], v[108:109]
	v_add_f64 v[110:111], v[86:87], -v[88:89]
	v_add_f64 v[114:115], v[92:93], -v[94:95]
	;; [unrolled: 1-line block ×3, first 2 shown]
	v_fmac_f64_e32 v[108:109], s[12:13], v[106:107]
	v_fmac_f64_e32 v[112:113], s[0:1], v[110:111]
	v_add_f64 v[114:115], v[114:115], v[116:117]
	v_fmac_f64_e32 v[108:109], s[14:15], v[110:111]
	v_fmac_f64_e32 v[112:113], s[10:11], v[114:115]
	v_fmac_f64_e32 v[108:109], s[10:11], v[114:115]
	v_add_f64 v[114:115], v[92:93], v[98:99]
	v_fmac_f64_e32 v[82:83], s[10:11], v[104:105]
	v_fmac_f64_e32 v[14:15], s[10:11], v[104:105]
	v_add_f64 v[104:105], v[8:9], v[92:93]
	v_fmac_f64_e32 v[8:9], -0.5, v[114:115]
	v_add_f64 v[104:105], v[104:105], v[94:95]
	v_fma_f64 v[116:117], s[12:13], v[110:111], v[8:9]
	v_add_f64 v[114:115], v[94:95], -v[92:93]
	v_add_f64 v[118:119], v[96:97], -v[98:99]
	v_fmac_f64_e32 v[8:9], s[4:5], v[110:111]
	v_add_f64 v[110:111], v[86:87], v[88:89]
	v_add_f64 v[104:105], v[104:105], v[96:97]
	v_fmac_f64_e32 v[116:117], s[0:1], v[106:107]
	v_add_f64 v[114:115], v[114:115], v[118:119]
	v_fmac_f64_e32 v[8:9], s[14:15], v[106:107]
	v_fma_f64 v[110:111], -0.5, v[110:111], v[10:11]
	v_add_f64 v[92:93], v[92:93], -v[98:99]
	v_add_f64 v[104:105], v[104:105], v[98:99]
	v_fmac_f64_e32 v[116:117], s[10:11], v[114:115]
	v_fmac_f64_e32 v[8:9], s[10:11], v[114:115]
	v_fma_f64 v[114:115], s[12:13], v[92:93], v[110:111]
	v_add_f64 v[94:95], v[94:95], -v[96:97]
	v_add_f64 v[96:97], v[84:85], -v[86:87]
	;; [unrolled: 1-line block ×3, first 2 shown]
	v_fmac_f64_e32 v[110:111], s[4:5], v[92:93]
	v_fmac_f64_e32 v[114:115], s[14:15], v[94:95]
	v_add_f64 v[96:97], v[96:97], v[98:99]
	v_fmac_f64_e32 v[110:111], s[0:1], v[94:95]
	v_fmac_f64_e32 v[114:115], s[10:11], v[96:97]
	;; [unrolled: 1-line block ×3, first 2 shown]
	v_add_f64 v[96:97], v[84:85], v[90:91]
	v_add_f64 v[106:107], v[10:11], v[84:85]
	v_fmac_f64_e32 v[10:11], -0.5, v[96:97]
	v_add_f64 v[106:107], v[106:107], v[86:87]
	v_fma_f64 v[118:119], s[4:5], v[94:95], v[10:11]
	v_add_f64 v[84:85], v[86:87], -v[84:85]
	v_add_f64 v[86:87], v[88:89], -v[90:91]
	v_fmac_f64_e32 v[10:11], s[12:13], v[94:95]
	v_add_f64 v[106:107], v[106:107], v[88:89]
	v_fmac_f64_e32 v[118:119], s[14:15], v[92:93]
	v_add_f64 v[84:85], v[84:85], v[86:87]
	;; [unrolled: 2-line block ×3, first 2 shown]
	v_fmac_f64_e32 v[118:119], s[10:11], v[84:85]
	v_fmac_f64_e32 v[10:11], s[10:11], v[84:85]
	ds_write_b128 v134, v[24:27]
	ds_write_b128 v134, v[28:31] offset:1040
	ds_write_b128 v134, v[32:35] offset:2080
	;; [unrolled: 1-line block ×4, first 2 shown]
	ds_write_b128 v120, v[40:43]
	ds_write_b128 v120, v[44:47] offset:1040
	ds_write_b128 v120, v[48:51] offset:2080
	;; [unrolled: 1-line block ×19, first 2 shown]
	s_waitcnt lgkmcnt(0)
	; wave barrier
	s_waitcnt lgkmcnt(0)
	s_and_saveexec_b64 s[0:1], vcc
	s_cbranch_execz .LBB0_17
; %bb.16:
	v_mul_lo_u32 v2, s3, v102
	v_mul_lo_u32 v3, s2, v103
	v_mad_u64_u32 v[0:1], s[0:1], s2, v102, 0
	v_mad_u64_u32 v[6:7], s[0:1], s16, v132, 0
	v_add3_u32 v1, v1, v3, v2
	v_mov_b32_e32 v2, v7
	v_mad_u64_u32 v[2:3], s[0:1], s17, v132, v[2:3]
	v_lshl_add_u32 v12, v132, 4, v133
	v_mov_b32_e32 v7, v2
	ds_read_b128 v[2:5], v12
	v_lshl_add_u64 v[0:1], v[0:1], 4, s[6:7]
	v_lshl_add_u64 v[0:1], v[100:101], 4, v[0:1]
	v_lshl_add_u64 v[10:11], v[6:7], 4, v[0:1]
	ds_read_b128 v[6:9], v12 offset:208
	s_waitcnt lgkmcnt(1)
	global_store_dwordx4 v[10:11], v[2:5], off
	s_nop 1
	v_add_u32_e32 v5, 13, v132
	v_mad_u64_u32 v[2:3], s[0:1], s16, v5, 0
	v_mov_b32_e32 v4, v3
	v_mad_u64_u32 v[4:5], s[0:1], s17, v5, v[4:5]
	v_mov_b32_e32 v3, v4
	v_lshl_add_u64 v[2:3], v[2:3], 4, v[0:1]
	s_waitcnt lgkmcnt(0)
	global_store_dwordx4 v[2:3], v[6:9], off
	ds_read_b128 v[2:5], v12 offset:416
	s_nop 0
	v_add_u32_e32 v9, 26, v132
	v_mad_u64_u32 v[6:7], s[0:1], s16, v9, 0
	v_mov_b32_e32 v8, v7
	v_mad_u64_u32 v[8:9], s[0:1], s17, v9, v[8:9]
	v_mov_b32_e32 v7, v8
	v_lshl_add_u64 v[10:11], v[6:7], 4, v[0:1]
	ds_read_b128 v[6:9], v12 offset:624
	s_waitcnt lgkmcnt(1)
	global_store_dwordx4 v[10:11], v[2:5], off
	s_nop 1
	v_add_u32_e32 v5, 39, v132
	v_mad_u64_u32 v[2:3], s[0:1], s16, v5, 0
	v_mov_b32_e32 v4, v3
	v_mad_u64_u32 v[4:5], s[0:1], s17, v5, v[4:5]
	v_mov_b32_e32 v3, v4
	v_lshl_add_u64 v[2:3], v[2:3], 4, v[0:1]
	s_waitcnt lgkmcnt(0)
	global_store_dwordx4 v[2:3], v[6:9], off
	ds_read_b128 v[2:5], v12 offset:832
	s_nop 0
	v_add_u32_e32 v9, 52, v132
	v_mad_u64_u32 v[6:7], s[0:1], s16, v9, 0
	v_mov_b32_e32 v8, v7
	v_mad_u64_u32 v[8:9], s[0:1], s17, v9, v[8:9]
	v_mov_b32_e32 v7, v8
	v_lshl_add_u64 v[10:11], v[6:7], 4, v[0:1]
	;; [unrolled: 20-line block ×12, first 2 shown]
	s_waitcnt lgkmcnt(0)
	global_store_dwordx4 v[0:1], v[2:5], off
.LBB0_17:
	s_endpgm
	.section	.rodata,"a",@progbits
	.p2align	6, 0x0
	.amdhsa_kernel fft_rtc_back_len325_factors_13_5_5_wgs_52_tpt_13_dp_op_CI_CI_sbrr_dirReg
		.amdhsa_group_segment_fixed_size 0
		.amdhsa_private_segment_fixed_size 0
		.amdhsa_kernarg_size 104
		.amdhsa_user_sgpr_count 2
		.amdhsa_user_sgpr_dispatch_ptr 0
		.amdhsa_user_sgpr_queue_ptr 0
		.amdhsa_user_sgpr_kernarg_segment_ptr 1
		.amdhsa_user_sgpr_dispatch_id 0
		.amdhsa_user_sgpr_kernarg_preload_length 0
		.amdhsa_user_sgpr_kernarg_preload_offset 0
		.amdhsa_user_sgpr_private_segment_size 0
		.amdhsa_uses_dynamic_stack 0
		.amdhsa_enable_private_segment 0
		.amdhsa_system_sgpr_workgroup_id_x 1
		.amdhsa_system_sgpr_workgroup_id_y 0
		.amdhsa_system_sgpr_workgroup_id_z 0
		.amdhsa_system_sgpr_workgroup_info 0
		.amdhsa_system_vgpr_workitem_id 0
		.amdhsa_next_free_vgpr 202
		.amdhsa_next_free_sgpr 50
		.amdhsa_accum_offset 204
		.amdhsa_reserve_vcc 1
		.amdhsa_float_round_mode_32 0
		.amdhsa_float_round_mode_16_64 0
		.amdhsa_float_denorm_mode_32 3
		.amdhsa_float_denorm_mode_16_64 3
		.amdhsa_dx10_clamp 1
		.amdhsa_ieee_mode 1
		.amdhsa_fp16_overflow 0
		.amdhsa_tg_split 0
		.amdhsa_exception_fp_ieee_invalid_op 0
		.amdhsa_exception_fp_denorm_src 0
		.amdhsa_exception_fp_ieee_div_zero 0
		.amdhsa_exception_fp_ieee_overflow 0
		.amdhsa_exception_fp_ieee_underflow 0
		.amdhsa_exception_fp_ieee_inexact 0
		.amdhsa_exception_int_div_zero 0
	.end_amdhsa_kernel
	.text
.Lfunc_end0:
	.size	fft_rtc_back_len325_factors_13_5_5_wgs_52_tpt_13_dp_op_CI_CI_sbrr_dirReg, .Lfunc_end0-fft_rtc_back_len325_factors_13_5_5_wgs_52_tpt_13_dp_op_CI_CI_sbrr_dirReg
                                        ; -- End function
	.section	.AMDGPU.csdata,"",@progbits
; Kernel info:
; codeLenInByte = 17780
; NumSgprs: 56
; NumVgprs: 202
; NumAgprs: 0
; TotalNumVgprs: 202
; ScratchSize: 0
; MemoryBound: 0
; FloatMode: 240
; IeeeMode: 1
; LDSByteSize: 0 bytes/workgroup (compile time only)
; SGPRBlocks: 6
; VGPRBlocks: 25
; NumSGPRsForWavesPerEU: 56
; NumVGPRsForWavesPerEU: 202
; AccumOffset: 204
; Occupancy: 2
; WaveLimiterHint : 1
; COMPUTE_PGM_RSRC2:SCRATCH_EN: 0
; COMPUTE_PGM_RSRC2:USER_SGPR: 2
; COMPUTE_PGM_RSRC2:TRAP_HANDLER: 0
; COMPUTE_PGM_RSRC2:TGID_X_EN: 1
; COMPUTE_PGM_RSRC2:TGID_Y_EN: 0
; COMPUTE_PGM_RSRC2:TGID_Z_EN: 0
; COMPUTE_PGM_RSRC2:TIDIG_COMP_CNT: 0
; COMPUTE_PGM_RSRC3_GFX90A:ACCUM_OFFSET: 50
; COMPUTE_PGM_RSRC3_GFX90A:TG_SPLIT: 0
	.text
	.p2alignl 6, 3212836864
	.fill 256, 4, 3212836864
	.type	__hip_cuid_772035508b68457a,@object ; @__hip_cuid_772035508b68457a
	.section	.bss,"aw",@nobits
	.globl	__hip_cuid_772035508b68457a
__hip_cuid_772035508b68457a:
	.byte	0                               ; 0x0
	.size	__hip_cuid_772035508b68457a, 1

	.ident	"AMD clang version 19.0.0git (https://github.com/RadeonOpenCompute/llvm-project roc-6.4.0 25133 c7fe45cf4b819c5991fe208aaa96edf142730f1d)"
	.section	".note.GNU-stack","",@progbits
	.addrsig
	.addrsig_sym __hip_cuid_772035508b68457a
	.amdgpu_metadata
---
amdhsa.kernels:
  - .agpr_count:     0
    .args:
      - .actual_access:  read_only
        .address_space:  global
        .offset:         0
        .size:           8
        .value_kind:     global_buffer
      - .offset:         8
        .size:           8
        .value_kind:     by_value
      - .actual_access:  read_only
        .address_space:  global
        .offset:         16
        .size:           8
        .value_kind:     global_buffer
      - .actual_access:  read_only
        .address_space:  global
        .offset:         24
        .size:           8
        .value_kind:     global_buffer
      - .actual_access:  read_only
        .address_space:  global
        .offset:         32
        .size:           8
        .value_kind:     global_buffer
      - .offset:         40
        .size:           8
        .value_kind:     by_value
      - .actual_access:  read_only
        .address_space:  global
        .offset:         48
        .size:           8
        .value_kind:     global_buffer
      - .actual_access:  read_only
        .address_space:  global
        .offset:         56
        .size:           8
        .value_kind:     global_buffer
      - .offset:         64
        .size:           4
        .value_kind:     by_value
      - .actual_access:  read_only
        .address_space:  global
        .offset:         72
        .size:           8
        .value_kind:     global_buffer
      - .actual_access:  read_only
        .address_space:  global
        .offset:         80
        .size:           8
        .value_kind:     global_buffer
      - .actual_access:  read_only
        .address_space:  global
        .offset:         88
        .size:           8
        .value_kind:     global_buffer
      - .actual_access:  write_only
        .address_space:  global
        .offset:         96
        .size:           8
        .value_kind:     global_buffer
    .group_segment_fixed_size: 0
    .kernarg_segment_align: 8
    .kernarg_segment_size: 104
    .language:       OpenCL C
    .language_version:
      - 2
      - 0
    .max_flat_workgroup_size: 52
    .name:           fft_rtc_back_len325_factors_13_5_5_wgs_52_tpt_13_dp_op_CI_CI_sbrr_dirReg
    .private_segment_fixed_size: 0
    .sgpr_count:     56
    .sgpr_spill_count: 0
    .symbol:         fft_rtc_back_len325_factors_13_5_5_wgs_52_tpt_13_dp_op_CI_CI_sbrr_dirReg.kd
    .uniform_work_group_size: 1
    .uses_dynamic_stack: false
    .vgpr_count:     202
    .vgpr_spill_count: 0
    .wavefront_size: 64
amdhsa.target:   amdgcn-amd-amdhsa--gfx950
amdhsa.version:
  - 1
  - 2
...

	.end_amdgpu_metadata
